;; amdgpu-corpus repo=ROCm/rocFFT kind=compiled arch=gfx950 opt=O3
	.text
	.amdgcn_target "amdgcn-amd-amdhsa--gfx950"
	.amdhsa_code_object_version 6
	.protected	bluestein_single_fwd_len1632_dim1_sp_op_CI_CI ; -- Begin function bluestein_single_fwd_len1632_dim1_sp_op_CI_CI
	.globl	bluestein_single_fwd_len1632_dim1_sp_op_CI_CI
	.p2align	8
	.type	bluestein_single_fwd_len1632_dim1_sp_op_CI_CI,@function
bluestein_single_fwd_len1632_dim1_sp_op_CI_CI: ; @bluestein_single_fwd_len1632_dim1_sp_op_CI_CI
; %bb.0:
	s_load_dwordx4 s[8:11], s[0:1], 0x28
	v_mul_u32_u24_e32 v1, 0x283, v0
	v_mov_b32_e32 v243, 0
	v_add_u32_sdwa v204, s2, v1 dst_sel:DWORD dst_unused:UNUSED_PAD src0_sel:DWORD src1_sel:WORD_1
	v_mov_b32_e32 v205, v243
	s_waitcnt lgkmcnt(0)
	v_cmp_gt_u64_e32 vcc, s[8:9], v[204:205]
	s_and_saveexec_b64 s[2:3], vcc
	s_cbranch_execz .LBB0_23
; %bb.1:
	s_load_dwordx2 s[8:9], s[0:1], 0x0
	s_load_dwordx2 s[12:13], s[0:1], 0x38
	s_movk_i32 s2, 0x66
	v_mul_lo_u16_sdwa v1, v1, s2 dst_sel:DWORD dst_unused:UNUSED_PAD src0_sel:WORD_1 src1_sel:DWORD
	v_sub_u16_e32 v242, v0, v1
	s_movk_i32 s2, 0x60
	v_cmp_gt_u16_e32 vcc, s2, v242
	v_lshlrev_b32_e32 v82, 3, v242
	s_and_saveexec_b64 s[14:15], vcc
	s_cbranch_execz .LBB0_3
; %bb.2:
	s_load_dwordx2 s[2:3], s[0:1], 0x18
	v_mov_b32_e32 v0, s10
	v_mov_b32_e32 v1, s11
	;; [unrolled: 1-line block ×3, first 2 shown]
	v_or_b32_e32 v21, 0x180, v242
	s_waitcnt lgkmcnt(0)
	s_load_dwordx4 s[4:7], s[2:3], 0x0
	v_mov_b32_e32 v58, 0x600
	v_mov_b32_e32 v83, 0
	v_lshl_add_u64 v[10:11], s[8:9], 0, v[82:83]
	v_or_b32_e32 v40, 0x300, v242
	s_waitcnt lgkmcnt(0)
	v_mad_u64_u32 v[2:3], s[2:3], s6, v204, 0
	v_mad_u64_u32 v[4:5], s[2:3], s4, v242, 0
	v_mov_b32_e32 v6, v3
	v_mov_b32_e32 v8, v5
	v_mad_u64_u32 v[6:7], s[2:3], s7, v204, v[6:7]
	v_mov_b32_e32 v3, v6
	v_mad_u64_u32 v[6:7], s[2:3], s5, v242, v[8:9]
	v_mov_b32_e32 v5, v6
	v_lshl_add_u64 v[0:1], v[2:3], 3, v[0:1]
	v_lshl_add_u64 v[8:9], v[4:5], 3, v[0:1]
	v_mad_u64_u32 v[12:13], s[2:3], s4, v67, v[8:9]
	s_mul_i32 s6, s5, 0x300
	v_add_u32_e32 v13, s6, v13
	v_mad_u64_u32 v[14:15], s[2:3], s4, v67, v[12:13]
	v_mad_u64_u32 v[18:19], s[2:3], s4, v21, 0
	v_add_u32_e32 v15, s6, v15
	v_mov_b32_e32 v20, v19
	v_mad_u64_u32 v[16:17], s[2:3], s4, v67, v[14:15]
	v_mad_u64_u32 v[20:21], s[2:3], s5, v21, v[20:21]
	v_add_u32_e32 v17, s6, v17
	v_mov_b32_e32 v19, v20
	global_load_dwordx2 v[6:7], v82, s[8:9]
	global_load_dwordx2 v[4:5], v82, s[8:9] offset:768
	global_load_dwordx2 v[2:3], v82, s[8:9] offset:1536
	v_lshl_add_u64 v[18:19], v[18:19], 3, v[0:1]
	global_load_dwordx2 v[20:21], v[8:9], off
	global_load_dwordx2 v[22:23], v[18:19], off
	v_mad_u64_u32 v[8:9], s[2:3], s4, v58, v[16:17]
	s_mul_i32 s7, s5, 0x600
	v_add_u32_e32 v9, s7, v9
	global_load_dwordx2 v[18:19], v[12:13], off
	global_load_dwordx2 v[24:25], v[14:15], off
	global_load_dwordx2 v[26:27], v[16:17], off
	global_load_dwordx2 v[28:29], v[8:9], off
	global_load_dwordx2 v[30:31], v82, s[8:9] offset:2304
	global_load_dwordx2 v[32:33], v82, s[8:9] offset:3072
	;; [unrolled: 1-line block ×3, first 2 shown]
	v_mad_u64_u32 v[8:9], s[2:3], s4, v67, v[8:9]
	s_movk_i32 s2, 0x1000
	v_add_u32_e32 v9, s6, v9
	v_add_co_u32_e64 v14, s[2:3], s2, v10
	global_load_dwordx2 v[12:13], v[8:9], off
	s_nop 0
	v_addc_co_u32_e64 v15, s[2:3], 0, v11, s[2:3]
	v_mad_u64_u32 v[8:9], s[2:3], s4, v67, v[8:9]
	v_add_u32_e32 v9, s6, v9
	v_mad_u64_u32 v[36:37], s[2:3], s4, v40, 0
	global_load_dwordx2 v[16:17], v[8:9], off
	v_mov_b32_e32 v38, v37
	v_mad_u64_u32 v[8:9], s[2:3], s4, v58, v[8:9]
	v_mad_u64_u32 v[38:39], s[2:3], s5, v40, v[38:39]
	v_add_u32_e32 v9, s7, v9
	v_mov_b32_e32 v37, v38
	global_load_dwordx2 v[38:39], v[8:9], off
	v_mad_u64_u32 v[8:9], s[2:3], s4, v67, v[8:9]
	v_lshl_add_u64 v[36:37], v[36:37], 3, v[0:1]
	v_add_u32_e32 v9, s6, v9
	global_load_dwordx2 v[36:37], v[36:37], off
	v_lshlrev_b32_e32 v50, 3, v40
	global_load_dwordx2 v[40:41], v[8:9], off
	global_load_dwordx2 v[42:43], v[14:15], off offset:512
	global_load_dwordx2 v[44:45], v[14:15], off offset:1280
	;; [unrolled: 1-line block ×4, first 2 shown]
	v_mad_u64_u32 v[8:9], s[2:3], s4, v67, v[8:9]
	s_movk_i32 s2, 0x2000
	s_nop 0
	v_add_co_u32_e64 v10, s[2:3], s2, v10
	v_or_b32_e32 v56, 0x480, v242
	s_nop 0
	v_addc_co_u32_e64 v11, s[2:3], 0, v11, s[2:3]
	v_mad_u64_u32 v[52:53], s[2:3], s4, v56, 0
	v_mov_b32_e32 v54, v53
	v_add_u32_e32 v9, s6, v9
	v_mad_u64_u32 v[54:55], s[2:3], s5, v56, v[54:55]
	global_load_dwordx2 v[14:15], v[8:9], off
	v_mov_b32_e32 v53, v54
	v_mad_u64_u32 v[8:9], s[2:3], s4, v58, v[8:9]
	global_load_dwordx2 v[50:51], v50, s[8:9]
	v_lshl_add_u64 v[52:53], v[52:53], 3, v[0:1]
	v_lshlrev_b32_e32 v59, 3, v56
	v_add_u32_e32 v9, s7, v9
	global_load_dwordx2 v[52:53], v[52:53], off
	s_nop 0
	global_load_dwordx2 v[54:55], v59, s[8:9]
	global_load_dwordx2 v[56:57], v[10:11], off offset:256
	v_or_b32_e32 v74, 0x600, v242
	global_load_dwordx2 v[58:59], v[8:9], off
	v_mad_u64_u32 v[8:9], s[2:3], s4, v67, v[8:9]
	v_add_u32_e32 v9, s6, v9
	global_load_dwordx2 v[60:61], v[8:9], off
	v_mad_u64_u32 v[64:65], s[2:3], s4, v74, 0
	v_mad_u64_u32 v[8:9], s[2:3], s4, v67, v[8:9]
	global_load_dwordx2 v[62:63], v[10:11], off offset:1792
	global_load_dwordx2 v[68:69], v[10:11], off offset:2560
	v_mov_b32_e32 v66, v65
	v_add_u32_e32 v9, s6, v9
	global_load_dwordx2 v[70:71], v[8:9], off
	global_load_dwordx2 v[72:73], v[10:11], off offset:3328
	v_mad_u64_u32 v[8:9], s[2:3], s5, v74, v[66:67]
	v_mov_b32_e32 v65, v8
	v_lshl_add_u64 v[0:1], v[64:65], 3, v[0:1]
	v_lshlrev_b32_e32 v8, 3, v74
	global_load_dwordx2 v[0:1], v[0:1], off
	s_waitcnt vmcnt(29)
	v_mul_f32_e32 v10, v20, v7
	global_load_dwordx2 v[8:9], v8, s[8:9]
	v_fma_f32 v11, v21, v6, -v10
	v_mul_f32_e32 v10, v21, v7
	v_fmac_f32_e32 v10, v20, v6
	s_waitcnt vmcnt(28)
	v_mul_f32_e32 v6, v19, v5
	v_mul_f32_e32 v5, v18, v5
	v_fmac_f32_e32 v6, v18, v4
	v_fma_f32 v7, v19, v4, -v5
	s_waitcnt vmcnt(27)
	v_mul_f32_e32 v4, v25, v3
	v_mul_f32_e32 v3, v24, v3
	v_fmac_f32_e32 v4, v24, v2
	v_fma_f32 v5, v25, v2, -v3
	s_waitcnt vmcnt(24)
	v_mul_f32_e32 v2, v27, v31
	v_mul_f32_e32 v3, v26, v31
	ds_write2_b64 v82, v[10:11], v[6:7] offset1:96
	v_fmac_f32_e32 v2, v26, v30
	v_fma_f32 v3, v27, v30, -v3
	v_add_u32_e32 v6, 0x400, v82
	ds_write2_b64 v6, v[4:5], v[2:3] offset0:64 offset1:160
	s_waitcnt vmcnt(23)
	v_mul_f32_e32 v2, v23, v33
	v_mul_f32_e32 v3, v22, v33
	s_waitcnt vmcnt(22)
	v_mul_f32_e32 v4, v29, v35
	v_mul_f32_e32 v5, v28, v35
	v_fmac_f32_e32 v2, v22, v32
	v_fma_f32 v3, v23, v32, -v3
	v_fmac_f32_e32 v4, v28, v34
	v_fma_f32 v5, v29, v34, -v5
	v_add_u32_e32 v6, 0x800, v82
	ds_write2_b64 v6, v[2:3], v[4:5] offset0:128 offset1:224
	v_add_u32_e32 v6, 0x1000, v82
	s_waitcnt vmcnt(16)
	v_mul_f32_e32 v2, v13, v43
	v_mul_f32_e32 v3, v12, v43
	s_waitcnt vmcnt(15)
	v_mul_f32_e32 v4, v17, v45
	v_mul_f32_e32 v5, v16, v45
	v_fmac_f32_e32 v2, v12, v42
	v_fma_f32 v3, v13, v42, -v3
	v_fmac_f32_e32 v4, v16, v44
	v_fma_f32 v5, v17, v44, -v5
	ds_write2_b64 v6, v[2:3], v[4:5] offset0:64 offset1:160
	s_waitcnt vmcnt(14)
	v_mul_f32_e32 v4, v39, v47
	v_mul_f32_e32 v5, v38, v47
	v_fmac_f32_e32 v4, v38, v46
	v_fma_f32 v5, v39, v46, -v5
	v_add_u32_e32 v6, 0x1800, v82
	s_waitcnt vmcnt(11)
	v_mul_f32_e32 v2, v37, v51
	v_mul_f32_e32 v3, v36, v51
	v_fmac_f32_e32 v2, v36, v50
	v_fma_f32 v3, v37, v50, -v3
	ds_write2_b64 v6, v[2:3], v[4:5] offset1:96
	v_mul_f32_e32 v2, v41, v49
	v_mul_f32_e32 v3, v40, v49
	s_waitcnt vmcnt(8)
	v_mul_f32_e32 v4, v15, v57
	v_mul_f32_e32 v5, v14, v57
	v_fmac_f32_e32 v2, v40, v48
	v_fma_f32 v3, v41, v48, -v3
	v_fmac_f32_e32 v4, v14, v56
	v_fma_f32 v5, v15, v56, -v5
	v_add_u32_e32 v6, 0x1c00, v82
	ds_write2_b64 v6, v[2:3], v[4:5] offset0:64 offset1:160
	v_mul_f32_e32 v2, v53, v55
	v_mul_f32_e32 v3, v52, v55
	s_waitcnt vmcnt(5)
	v_mul_f32_e32 v4, v59, v63
	v_mul_f32_e32 v5, v58, v63
	v_fmac_f32_e32 v2, v52, v54
	v_fma_f32 v3, v53, v54, -v3
	v_fmac_f32_e32 v4, v58, v62
	v_fma_f32 v5, v59, v62, -v5
	v_add_u32_e32 v6, 0x2000, v82
	ds_write2_b64 v6, v[2:3], v[4:5] offset0:128 offset1:224
	s_waitcnt vmcnt(4)
	v_mul_f32_e32 v2, v61, v69
	v_mul_f32_e32 v3, v60, v69
	s_waitcnt vmcnt(2)
	v_mul_f32_e32 v4, v71, v73
	v_mul_f32_e32 v5, v70, v73
	v_fmac_f32_e32 v2, v60, v68
	v_fma_f32 v3, v61, v68, -v3
	v_fmac_f32_e32 v4, v70, v72
	v_fma_f32 v5, v71, v72, -v5
	v_add_u32_e32 v6, 0x2800, v82
	ds_write2_b64 v6, v[2:3], v[4:5] offset0:64 offset1:160
	s_waitcnt vmcnt(0)
	v_mul_f32_e32 v2, v1, v9
	v_fmac_f32_e32 v2, v0, v8
	v_mul_f32_e32 v0, v0, v9
	v_fma_f32 v3, v1, v8, -v0
	ds_write_b64 v82, v[2:3] offset:12288
.LBB0_3:
	s_or_b64 exec, exec, s[14:15]
	s_load_dwordx2 s[2:3], s[0:1], 0x20
	s_load_dwordx2 s[10:11], s[0:1], 0x8
	v_mov_b64_e32 v[0:1], 0
	s_waitcnt lgkmcnt(0)
	s_barrier
	s_waitcnt lgkmcnt(0)
                                        ; implicit-def: $vgpr6
                                        ; implicit-def: $vgpr12
                                        ; implicit-def: $vgpr10
                                        ; implicit-def: $vgpr20
                                        ; implicit-def: $vgpr18
                                        ; implicit-def: $vgpr28
                                        ; implicit-def: $vgpr26
                                        ; implicit-def: $vgpr32
	s_and_saveexec_b64 s[0:1], vcc
	s_cbranch_execz .LBB0_5
; %bb.4:
	v_add_u32_e32 v4, 0x400, v82
	ds_read2_b64 v[24:27], v4 offset0:64 offset1:160
	v_add_u32_e32 v4, 0x800, v82
	ds_read2_b64 v[16:19], v4 offset0:128 offset1:224
	;; [unrolled: 2-line block ×3, first 2 shown]
	v_add_u32_e32 v4, 0x1800, v82
	v_add_u32_e32 v12, 0x1c00, v82
	;; [unrolled: 1-line block ×4, first 2 shown]
	ds_read2_b64 v[0:3], v82 offset1:96
	ds_read2_b64 v[4:7], v4 offset1:96
	ds_read2_b64 v[12:15], v12 offset0:64 offset1:160
	ds_read2_b64 v[20:23], v20 offset0:128 offset1:224
	ds_read2_b64 v[28:31], v28 offset0:64 offset1:160
	ds_read_b64 v[32:33], v82 offset:12288
.LBB0_5:
	s_or_b64 exec, exec, s[0:1]
	s_waitcnt lgkmcnt(0)
	v_pk_add_f32 v[54:55], v[2:3], v[32:33] neg_lo:[0,1] neg_hi:[0,1]
	s_mov_b32 s26, 0xbeb8f4ab
	v_pk_add_f32 v[48:49], v[32:33], v[2:3]
	v_pk_add_f32 v[50:51], v[24:25], v[30:31] neg_lo:[0,1] neg_hi:[0,1]
	s_mov_b32 s16, 0x3f6eb680
	v_pk_mul_f32 v[52:53], v[54:55], s[26:27] op_sel_hi:[1,0]
	s_mov_b32 s40, 0xbf2c7751
	v_pk_add_f32 v[46:47], v[30:31], v[24:25]
	v_pk_fma_f32 v[64:65], v[48:49], s[16:17], v[52:53] op_sel:[0,0,1] op_sel_hi:[1,0,0]
	v_pk_fma_f32 v[66:67], v[48:49], s[16:17], v[52:53] op_sel:[0,0,1] op_sel_hi:[1,0,0] neg_lo:[0,0,1] neg_hi:[0,0,1]
	s_mov_b32 s14, 0x3f3d2fb0
	v_pk_mul_f32 v[56:57], v[50:51], s[40:41] op_sel_hi:[1,0]
	v_mov_b32_e32 v52, v64
	v_mov_b32_e32 v53, v67
	v_pk_fma_f32 v[70:71], v[46:47], s[14:15], v[56:57] op_sel:[0,0,1] op_sel_hi:[1,0,0]
	v_pk_fma_f32 v[72:73], v[46:47], s[14:15], v[56:57] op_sel:[0,0,1] op_sel_hi:[1,0,0] neg_lo:[0,0,1] neg_hi:[0,0,1]
	v_pk_add_f32 v[44:45], v[26:27], v[28:29] neg_lo:[0,1] neg_hi:[0,1]
	v_pk_add_f32 v[52:53], v[52:53], v[0:1]
	v_mov_b32_e32 v56, v70
	v_mov_b32_e32 v57, v73
	s_mov_b32 s44, 0xbf65296c
	v_pk_add_f32 v[42:43], v[28:29], v[26:27]
	v_pk_add_f32 v[52:53], v[56:57], v[52:53]
	s_mov_b32 s6, 0x3ee437d1
	v_pk_mul_f32 v[56:57], v[44:45], s[44:45] op_sel_hi:[1,0]
	v_pk_add_f32 v[40:41], v[16:17], v[22:23] neg_lo:[0,1] neg_hi:[0,1]
	v_pk_fma_f32 v[74:75], v[42:43], s[6:7], v[56:57] op_sel:[0,0,1] op_sel_hi:[1,0,0]
	v_pk_fma_f32 v[76:77], v[42:43], s[6:7], v[56:57] op_sel:[0,0,1] op_sel_hi:[1,0,0] neg_lo:[0,0,1] neg_hi:[0,0,1]
	v_mov_b32_e32 v56, v74
	v_mov_b32_e32 v57, v77
	s_mov_b32 s36, 0xbf7ee86f
	v_pk_add_f32 v[38:39], v[22:23], v[16:17]
	v_pk_add_f32 v[52:53], v[56:57], v[52:53]
	s_mov_b32 s4, 0x3dbcf732
	v_pk_mul_f32 v[56:57], v[40:41], s[36:37] op_sel_hi:[1,0]
	v_pk_add_f32 v[36:37], v[18:19], v[20:21] neg_lo:[0,1] neg_hi:[0,1]
	v_pk_fma_f32 v[84:85], v[38:39], s[4:5], v[56:57] op_sel:[0,0,1] op_sel_hi:[1,0,0]
	v_pk_fma_f32 v[86:87], v[38:39], s[4:5], v[56:57] op_sel:[0,0,1] op_sel_hi:[1,0,0] neg_lo:[0,0,1] neg_hi:[0,0,1]
	v_mov_b32_e32 v56, v84
	v_mov_b32_e32 v57, v87
	s_mov_b32 s20, 0xbf763a35
	v_pk_add_f32 v[34:35], v[20:21], v[18:19]
	v_pk_add_f32 v[52:53], v[56:57], v[52:53]
	s_mov_b32 s18, 0xbe8c1d8e
	v_pk_mul_f32 v[56:57], v[36:37], s[20:21] op_sel_hi:[1,0]
	s_mov_b32 s24, 0xbf4c4adb
	v_pk_fma_f32 v[88:89], v[34:35], s[18:19], v[56:57] op_sel:[0,0,1] op_sel_hi:[1,0,0]
	v_pk_fma_f32 v[90:91], v[34:35], s[18:19], v[56:57] op_sel:[0,0,1] op_sel_hi:[1,0,0] neg_lo:[0,0,1] neg_hi:[0,0,1]
	v_mov_b32_e32 v56, v88
	v_mov_b32_e32 v57, v91
	v_pk_add_f32 v[58:59], v[8:9], v[14:15] neg_lo:[0,1] neg_hi:[0,1]
	v_pk_add_f32 v[52:53], v[56:57], v[52:53]
	s_mov_b32 s22, 0xbf1a4643
	v_pk_add_f32 v[56:57], v[14:15], v[8:9]
	v_pk_mul_f32 v[60:61], v[58:59], s[24:25] op_sel_hi:[1,0]
	s_mov_b32 s30, 0xbf06c442
	v_pk_fma_f32 v[92:93], v[56:57], s[22:23], v[60:61] op_sel:[0,0,1] op_sel_hi:[1,0,0]
	v_pk_fma_f32 v[94:95], v[56:57], s[22:23], v[60:61] op_sel:[0,0,1] op_sel_hi:[1,0,0] neg_lo:[0,0,1] neg_hi:[0,0,1]
	v_mov_b32_e32 v60, v92
	v_mov_b32_e32 v61, v95
	v_pk_add_f32 v[62:63], v[10:11], v[12:13] neg_lo:[0,1] neg_hi:[0,1]
	v_pk_add_f32 v[52:53], v[60:61], v[52:53]
	s_mov_b32 s28, 0xbf59a7d5
	v_pk_add_f32 v[60:61], v[12:13], v[10:11]
	;; [unrolled: 10-line block ×3, first 2 shown]
	v_pk_mul_f32 v[102:103], v[78:79], s[38:39] op_sel_hi:[1,0]
	v_mul_lo_u16_e32 v235, 17, v242
	v_pk_fma_f32 v[100:101], v[68:69], s[34:35], v[102:103] op_sel:[0,0,1] op_sel_hi:[1,0,0]
	v_pk_fma_f32 v[102:103], v[68:69], s[34:35], v[102:103] op_sel:[0,0,1] op_sel_hi:[1,0,0] neg_lo:[0,0,1] neg_hi:[0,0,1]
	v_mov_b32_e32 v104, v100
	v_mov_b32_e32 v105, v103
	v_pk_add_f32 v[52:53], v[104:105], v[52:53]
	s_barrier
	s_and_saveexec_b64 s[0:1], vcc
	s_cbranch_execz .LBB0_7
; %bb.6:
	v_pk_add_f32 v[2:3], v[2:3], v[0:1]
	v_mov_b32_e32 v67, v65
	v_pk_add_f32 v[2:3], v[24:25], v[2:3]
	v_mov_b32_e32 v73, v71
	;; [unrolled: 2-line block ×7, first 2 shown]
	v_pk_add_f32 v[2:3], v[4:5], v[2:3]
	v_pk_add_f32 v[4:5], v[66:67], v[0:1]
	;; [unrolled: 1-line block ×15, first 2 shown]
	v_mov_b32_e32 v103, v101
	v_lshlrev_b32_e32 v83, 3, v235
	v_pk_add_f32 v[2:3], v[32:33], v[2:3]
	v_pk_add_f32 v[4:5], v[102:103], v[4:5]
	ds_write2_b64 v83, v[2:3], v[4:5] offset1:1
	v_pk_mul_f32 v[4:5], v[54:55], s[40:41] op_sel_hi:[1,0]
	v_pk_mul_f32 v[8:9], v[50:51], s[36:37] op_sel_hi:[1,0]
	v_pk_fma_f32 v[2:3], v[48:49], s[14:15], v[4:5] op_sel:[0,0,1] op_sel_hi:[1,0,0] neg_lo:[0,0,1] neg_hi:[0,0,1]
	v_pk_fma_f32 v[4:5], v[48:49], s[14:15], v[4:5] op_sel:[0,0,1] op_sel_hi:[1,0,0]
	v_mov_b32_e32 v6, v2
	v_mov_b32_e32 v7, v5
	v_pk_add_f32 v[10:11], v[6:7], v[0:1]
	v_pk_fma_f32 v[6:7], v[46:47], s[4:5], v[8:9] op_sel:[0,0,1] op_sel_hi:[1,0,0] neg_lo:[0,0,1] neg_hi:[0,0,1]
	v_pk_fma_f32 v[8:9], v[46:47], s[4:5], v[8:9] op_sel:[0,0,1] op_sel_hi:[1,0,0]
	v_mov_b32_e32 v12, v6
	v_mov_b32_e32 v13, v9
	v_pk_add_f32 v[14:15], v[12:13], v[10:11]
	v_pk_mul_f32 v[12:13], v[44:45], s[24:25] op_sel_hi:[1,0]
	s_mov_b32 s52, 0x3f06c442
	v_pk_fma_f32 v[10:11], v[42:43], s[22:23], v[12:13] op_sel:[0,0,1] op_sel_hi:[1,0,0] neg_lo:[0,0,1] neg_hi:[0,0,1]
	v_pk_fma_f32 v[12:13], v[42:43], s[22:23], v[12:13] op_sel:[0,0,1] op_sel_hi:[1,0,0]
	v_mov_b32_e32 v16, v10
	v_mov_b32_e32 v17, v13
	v_pk_add_f32 v[18:19], v[16:17], v[14:15]
	v_pk_mul_f32 v[16:17], v[40:41], s[38:39] op_sel_hi:[1,0]
	s_mov_b32 s50, 0x3f763a35
	;; [unrolled: 7-line block ×4, first 2 shown]
	v_pk_fma_f32 v[22:23], v[56:57], s[18:19], v[24:25] op_sel:[0,0,1] op_sel_hi:[1,0,0] neg_lo:[0,0,1] neg_hi:[0,0,1]
	v_pk_fma_f32 v[24:25], v[56:57], s[18:19], v[24:25] op_sel:[0,0,1] op_sel_hi:[1,0,0]
	v_mov_b32_e32 v28, v22
	v_mov_b32_e32 v29, v25
	v_pk_add_f32 v[30:31], v[28:29], v[26:27]
	v_pk_mul_f32 v[28:29], v[62:63], s[42:43] op_sel_hi:[1,0]
	v_pk_mul_f32 v[72:73], v[50:51], s[24:25] op_sel_hi:[1,0]
	v_pk_fma_f32 v[26:27], v[60:61], s[6:7], v[28:29] op_sel:[0,0,1] op_sel_hi:[1,0,0] neg_lo:[0,0,1] neg_hi:[0,0,1]
	v_pk_fma_f32 v[28:29], v[60:61], s[6:7], v[28:29] op_sel:[0,0,1] op_sel_hi:[1,0,0]
	v_mov_b32_e32 v32, v26
	v_mov_b32_e32 v33, v29
	v_pk_add_f32 v[64:65], v[32:33], v[30:31]
	v_pk_mul_f32 v[32:33], v[78:79], s[46:47] op_sel_hi:[1,0]
	s_mov_b32 s48, 0x3e3c28d5
	v_pk_fma_f32 v[30:31], v[68:69], s[16:17], v[32:33] op_sel:[0,0,1] op_sel_hi:[1,0,0] neg_lo:[0,0,1] neg_hi:[0,0,1]
	v_pk_fma_f32 v[32:33], v[68:69], s[16:17], v[32:33] op_sel:[0,0,1] op_sel_hi:[1,0,0]
	v_mov_b32_e32 v66, v30
	v_mov_b32_e32 v67, v33
	v_pk_add_f32 v[84:85], v[66:67], v[64:65]
	v_pk_mul_f32 v[66:67], v[54:55], s[44:45] op_sel_hi:[1,0]
	v_pk_mul_f32 v[76:77], v[44:45], s[48:49] op_sel_hi:[1,0]
	v_pk_fma_f32 v[64:65], v[48:49], s[6:7], v[66:67] op_sel:[0,0,1] op_sel_hi:[1,0,0] neg_lo:[0,0,1] neg_hi:[0,0,1]
	v_pk_fma_f32 v[66:67], v[48:49], s[6:7], v[66:67] op_sel:[0,0,1] op_sel_hi:[1,0,0]
	v_mov_b32_e32 v70, v64
	v_mov_b32_e32 v71, v67
	v_pk_add_f32 v[74:75], v[70:71], v[0:1]
	v_pk_fma_f32 v[70:71], v[46:47], s[22:23], v[72:73] op_sel:[0,0,1] op_sel_hi:[1,0,0] neg_lo:[0,0,1] neg_hi:[0,0,1]
	v_pk_fma_f32 v[72:73], v[46:47], s[22:23], v[72:73] op_sel:[0,0,1] op_sel_hi:[1,0,0]
	v_mov_b32_e32 v86, v70
	v_mov_b32_e32 v87, v73
	v_pk_add_f32 v[86:87], v[86:87], v[74:75]
	v_pk_fma_f32 v[74:75], v[42:43], s[34:35], v[76:77] op_sel:[0,0,1] op_sel_hi:[1,0,0] neg_lo:[0,0,1] neg_hi:[0,0,1]
	v_pk_fma_f32 v[76:77], v[42:43], s[34:35], v[76:77] op_sel:[0,0,1] op_sel_hi:[1,0,0]
	v_pk_mul_f32 v[88:89], v[40:41], s[50:51] op_sel_hi:[1,0]
	v_mov_b32_e32 v90, v74
	v_mov_b32_e32 v91, v77
	v_pk_add_f32 v[90:91], v[90:91], v[86:87]
	v_pk_fma_f32 v[86:87], v[38:39], s[18:19], v[88:89] op_sel:[0,0,1] op_sel_hi:[1,0,0] neg_lo:[0,0,1] neg_hi:[0,0,1]
	v_pk_fma_f32 v[88:89], v[38:39], s[18:19], v[88:89] op_sel:[0,0,1] op_sel_hi:[1,0,0]
	v_mov_b32_e32 v92, v86
	v_mov_b32_e32 v93, v89
	s_mov_b32 s48, 0x3f2c7751
	v_pk_add_f32 v[94:95], v[92:93], v[90:91]
	v_pk_mul_f32 v[92:93], v[36:37], s[48:49] op_sel_hi:[1,0]
	v_pk_mul_f32 v[110:111], v[50:51], s[38:39] op_sel_hi:[1,0]
	v_pk_fma_f32 v[90:91], v[34:35], s[14:15], v[92:93] op_sel:[0,0,1] op_sel_hi:[1,0,0] neg_lo:[0,0,1] neg_hi:[0,0,1]
	v_pk_fma_f32 v[92:93], v[34:35], s[14:15], v[92:93] op_sel:[0,0,1] op_sel_hi:[1,0,0]
	v_mov_b32_e32 v96, v90
	v_mov_b32_e32 v97, v93
	v_pk_add_f32 v[98:99], v[96:97], v[94:95]
	v_pk_mul_f32 v[96:97], v[58:59], s[26:27] op_sel_hi:[1,0]
	v_pk_fma_f32 v[112:113], v[46:47], s[34:35], v[110:111] op_sel:[0,0,1] op_sel_hi:[1,0,0] neg_lo:[0,0,1] neg_hi:[0,0,1]
	v_pk_fma_f32 v[94:95], v[56:57], s[16:17], v[96:97] op_sel:[0,0,1] op_sel_hi:[1,0,0] neg_lo:[0,0,1] neg_hi:[0,0,1]
	v_pk_fma_f32 v[96:97], v[56:57], s[16:17], v[96:97] op_sel:[0,0,1] op_sel_hi:[1,0,0]
	v_mov_b32_e32 v100, v94
	v_mov_b32_e32 v101, v97
	v_pk_add_f32 v[102:103], v[100:101], v[98:99]
	v_pk_mul_f32 v[100:101], v[62:63], s[36:37] op_sel_hi:[1,0]
	v_pk_fma_f32 v[110:111], v[46:47], s[34:35], v[110:111] op_sel:[0,0,1] op_sel_hi:[1,0,0]
	v_pk_fma_f32 v[98:99], v[60:61], s[4:5], v[100:101] op_sel:[0,0,1] op_sel_hi:[1,0,0] neg_lo:[0,0,1] neg_hi:[0,0,1]
	v_pk_fma_f32 v[100:101], v[60:61], s[4:5], v[100:101] op_sel:[0,0,1] op_sel_hi:[1,0,0]
	v_mov_b32_e32 v104, v98
	v_mov_b32_e32 v105, v101
	v_pk_add_f32 v[106:107], v[104:105], v[102:103]
	v_pk_mul_f32 v[104:105], v[78:79], s[30:31] op_sel_hi:[1,0]
	v_mov_b32_e32 v114, v112
	v_pk_fma_f32 v[102:103], v[68:69], s[28:29], v[104:105] op_sel:[0,0,1] op_sel_hi:[1,0,0] neg_lo:[0,0,1] neg_hi:[0,0,1]
	v_pk_fma_f32 v[104:105], v[68:69], s[28:29], v[104:105] op_sel:[0,0,1] op_sel_hi:[1,0,0]
	v_mov_b32_e32 v108, v102
	v_mov_b32_e32 v109, v105
	v_pk_add_f32 v[106:107], v[108:109], v[106:107]
	ds_write2_b64 v83, v[84:85], v[106:107] offset0:2 offset1:3
	v_pk_mul_f32 v[84:85], v[54:55], s[36:37] op_sel_hi:[1,0]
	v_mov_b32_e32 v115, v111
	v_pk_fma_f32 v[108:109], v[48:49], s[4:5], v[84:85] op_sel:[0,0,1] op_sel_hi:[1,0,0] neg_lo:[0,0,1] neg_hi:[0,0,1]
	v_pk_fma_f32 v[106:107], v[48:49], s[4:5], v[84:85] op_sel:[0,0,1] op_sel_hi:[1,0,0]
	v_mov_b32_e32 v84, v108
	v_mov_b32_e32 v85, v107
	v_pk_add_f32 v[84:85], v[84:85], v[0:1]
	v_pk_mul_f32 v[116:117], v[44:45], s[50:51] op_sel_hi:[1,0]
	v_pk_add_f32 v[84:85], v[114:115], v[84:85]
	v_pk_fma_f32 v[114:115], v[42:43], s[18:19], v[116:117] op_sel:[0,0,1] op_sel_hi:[1,0,0] neg_lo:[0,0,1] neg_hi:[0,0,1]
	v_pk_fma_f32 v[116:117], v[42:43], s[18:19], v[116:117] op_sel:[0,0,1] op_sel_hi:[1,0,0]
	v_mov_b32_e32 v118, v114
	v_mov_b32_e32 v119, v117
	v_pk_mul_f32 v[120:121], v[40:41], s[46:47] op_sel_hi:[1,0]
	v_pk_add_f32 v[84:85], v[118:119], v[84:85]
	v_pk_fma_f32 v[118:119], v[38:39], s[16:17], v[120:121] op_sel:[0,0,1] op_sel_hi:[1,0,0] neg_lo:[0,0,1] neg_hi:[0,0,1]
	v_pk_fma_f32 v[120:121], v[38:39], s[16:17], v[120:121] op_sel:[0,0,1] op_sel_hi:[1,0,0]
	v_mov_b32_e32 v122, v118
	v_mov_b32_e32 v123, v121
	;; [unrolled: 6-line block ×3, first 2 shown]
	v_pk_mul_f32 v[128:129], v[58:59], s[30:31] op_sel_hi:[1,0]
	v_pk_add_f32 v[84:85], v[126:127], v[84:85]
	v_pk_fma_f32 v[126:127], v[56:57], s[28:29], v[128:129] op_sel:[0,0,1] op_sel_hi:[1,0,0] neg_lo:[0,0,1] neg_hi:[0,0,1]
	v_pk_fma_f32 v[128:129], v[56:57], s[28:29], v[128:129] op_sel:[0,0,1] op_sel_hi:[1,0,0]
	s_mov_b32 s54, 0x3f4c4adb
	v_mov_b32_e32 v130, v126
	v_mov_b32_e32 v131, v129
	v_pk_mul_f32 v[132:133], v[62:63], s[54:55] op_sel_hi:[1,0]
	v_pk_add_f32 v[84:85], v[130:131], v[84:85]
	v_pk_fma_f32 v[130:131], v[60:61], s[22:23], v[132:133] op_sel:[0,0,1] op_sel_hi:[1,0,0] neg_lo:[0,0,1] neg_hi:[0,0,1]
	v_pk_fma_f32 v[132:133], v[60:61], s[22:23], v[132:133] op_sel:[0,0,1] op_sel_hi:[1,0,0]
	v_mov_b32_e32 v134, v130
	v_mov_b32_e32 v135, v133
	v_pk_mul_f32 v[136:137], v[78:79], s[48:49] op_sel_hi:[1,0]
	v_pk_add_f32 v[84:85], v[134:135], v[84:85]
	v_pk_fma_f32 v[134:135], v[68:69], s[14:15], v[136:137] op_sel:[0,0,1] op_sel_hi:[1,0,0] neg_lo:[0,0,1] neg_hi:[0,0,1]
	v_pk_fma_f32 v[136:137], v[68:69], s[14:15], v[136:137] op_sel:[0,0,1] op_sel_hi:[1,0,0]
	v_mov_b32_e32 v138, v134
	v_mov_b32_e32 v139, v137
	v_pk_add_f32 v[168:169], v[138:139], v[84:85]
	v_pk_mul_f32 v[84:85], v[54:55], s[20:21] op_sel_hi:[1,0]
	v_pk_mul_f32 v[174:175], v[50:51], s[50:51] op_sel_hi:[1,0]
	v_pk_fma_f32 v[138:139], v[48:49], s[18:19], v[84:85] op_sel:[0,0,1] op_sel_hi:[1,0,0] neg_lo:[0,0,1] neg_hi:[0,0,1]
	v_pk_fma_f32 v[84:85], v[48:49], s[18:19], v[84:85] op_sel:[0,0,1] op_sel_hi:[1,0,0]
	v_mov_b32_e32 v140, v138
	v_mov_b32_e32 v141, v85
	v_pk_add_f32 v[144:145], v[140:141], v[0:1]
	v_pk_mul_f32 v[140:141], v[50:51], s[52:53] op_sel_hi:[1,0]
	v_pk_fma_f32 v[176:177], v[46:47], s[18:19], v[174:175] op_sel:[0,0,1] op_sel_hi:[1,0,0] neg_lo:[0,0,1] neg_hi:[0,0,1]
	v_pk_fma_f32 v[142:143], v[46:47], s[28:29], v[140:141] op_sel:[0,0,1] op_sel_hi:[1,0,0] neg_lo:[0,0,1] neg_hi:[0,0,1]
	v_pk_fma_f32 v[140:141], v[46:47], s[28:29], v[140:141] op_sel:[0,0,1] op_sel_hi:[1,0,0]
	v_mov_b32_e32 v146, v142
	v_mov_b32_e32 v147, v141
	v_pk_add_f32 v[148:149], v[146:147], v[144:145]
	v_pk_mul_f32 v[146:147], v[44:45], s[48:49] op_sel_hi:[1,0]
	v_pk_fma_f32 v[174:175], v[46:47], s[18:19], v[174:175] op_sel:[0,0,1] op_sel_hi:[1,0,0]
	v_pk_fma_f32 v[144:145], v[42:43], s[14:15], v[146:147] op_sel:[0,0,1] op_sel_hi:[1,0,0] neg_lo:[0,0,1] neg_hi:[0,0,1]
	v_pk_fma_f32 v[146:147], v[42:43], s[14:15], v[146:147] op_sel:[0,0,1] op_sel_hi:[1,0,0]
	v_mov_b32_e32 v150, v144
	v_mov_b32_e32 v151, v147
	v_pk_add_f32 v[152:153], v[150:151], v[148:149]
	v_pk_mul_f32 v[150:151], v[40:41], s[44:45] op_sel_hi:[1,0]
	s_mov_b32 s44, 0x3f7ee86f
	v_pk_fma_f32 v[148:149], v[38:39], s[6:7], v[150:151] op_sel:[0,0,1] op_sel_hi:[1,0,0] neg_lo:[0,0,1] neg_hi:[0,0,1]
	v_pk_fma_f32 v[150:151], v[38:39], s[6:7], v[150:151] op_sel:[0,0,1] op_sel_hi:[1,0,0]
	v_mov_b32_e32 v154, v148
	v_mov_b32_e32 v155, v151
	v_pk_add_f32 v[156:157], v[154:155], v[152:153]
	v_pk_mul_f32 v[154:155], v[36:37], s[38:39] op_sel_hi:[1,0]
	v_mov_b32_e32 v178, v176
	v_pk_fma_f32 v[152:153], v[34:35], s[34:35], v[154:155] op_sel:[0,0,1] op_sel_hi:[1,0,0] neg_lo:[0,0,1] neg_hi:[0,0,1]
	v_pk_fma_f32 v[154:155], v[34:35], s[34:35], v[154:155] op_sel:[0,0,1] op_sel_hi:[1,0,0]
	v_mov_b32_e32 v158, v152
	v_mov_b32_e32 v159, v155
	v_pk_add_f32 v[160:161], v[158:159], v[156:157]
	v_pk_mul_f32 v[158:159], v[58:59], s[44:45] op_sel_hi:[1,0]
	v_mov_b32_e32 v179, v175
	v_pk_fma_f32 v[156:157], v[56:57], s[4:5], v[158:159] op_sel:[0,0,1] op_sel_hi:[1,0,0] neg_lo:[0,0,1] neg_hi:[0,0,1]
	v_pk_fma_f32 v[158:159], v[56:57], s[4:5], v[158:159] op_sel:[0,0,1] op_sel_hi:[1,0,0]
	v_mov_b32_e32 v162, v156
	v_mov_b32_e32 v163, v159
	v_pk_add_f32 v[164:165], v[162:163], v[160:161]
	v_pk_mul_f32 v[162:163], v[62:63], s[26:27] op_sel_hi:[1,0]
	v_pk_mul_f32 v[210:211], v[50:51], s[42:43] op_sel_hi:[1,0]
	v_pk_fma_f32 v[160:161], v[60:61], s[16:17], v[162:163] op_sel:[0,0,1] op_sel_hi:[1,0,0] neg_lo:[0,0,1] neg_hi:[0,0,1]
	v_pk_fma_f32 v[162:163], v[60:61], s[16:17], v[162:163] op_sel:[0,0,1] op_sel_hi:[1,0,0]
	v_mov_b32_e32 v166, v160
	v_mov_b32_e32 v167, v163
	v_pk_add_f32 v[170:171], v[166:167], v[164:165]
	v_pk_mul_f32 v[166:167], v[78:79], s[24:25] op_sel_hi:[1,0]
	v_pk_fma_f32 v[212:213], v[46:47], s[6:7], v[210:211] op_sel:[0,0,1] op_sel_hi:[1,0,0] neg_lo:[0,0,1] neg_hi:[0,0,1]
	v_pk_fma_f32 v[164:165], v[68:69], s[22:23], v[166:167] op_sel:[0,0,1] op_sel_hi:[1,0,0] neg_lo:[0,0,1] neg_hi:[0,0,1]
	v_pk_fma_f32 v[166:167], v[68:69], s[22:23], v[166:167] op_sel:[0,0,1] op_sel_hi:[1,0,0]
	v_mov_b32_e32 v172, v164
	v_mov_b32_e32 v173, v167
	v_pk_add_f32 v[170:171], v[172:173], v[170:171]
	ds_write2_b64 v83, v[168:169], v[170:171] offset0:4 offset1:5
	v_pk_mul_f32 v[168:169], v[54:55], s[24:25] op_sel_hi:[1,0]
	v_pk_fma_f32 v[210:211], v[46:47], s[6:7], v[210:211] op_sel:[0,0,1] op_sel_hi:[1,0,0]
	v_pk_fma_f32 v[170:171], v[48:49], s[22:23], v[168:169] op_sel:[0,0,1] op_sel_hi:[1,0,0] neg_lo:[0,0,1] neg_hi:[0,0,1]
	v_pk_fma_f32 v[168:169], v[48:49], s[22:23], v[168:169] op_sel:[0,0,1] op_sel_hi:[1,0,0]
	v_mov_b32_e32 v172, v170
	v_mov_b32_e32 v173, v169
	v_pk_add_f32 v[172:173], v[172:173], v[0:1]
	v_mov_b32_e32 v214, v212
	v_pk_add_f32 v[172:173], v[178:179], v[172:173]
	v_pk_mul_f32 v[178:179], v[44:45], s[26:27] op_sel_hi:[1,0]
	v_mov_b32_e32 v215, v211
	v_pk_fma_f32 v[180:181], v[42:43], s[16:17], v[178:179] op_sel:[0,0,1] op_sel_hi:[1,0,0] neg_lo:[0,0,1] neg_hi:[0,0,1]
	v_pk_fma_f32 v[178:179], v[42:43], s[16:17], v[178:179] op_sel:[0,0,1] op_sel_hi:[1,0,0]
	v_mov_b32_e32 v182, v180
	v_mov_b32_e32 v183, v179
	v_pk_add_f32 v[172:173], v[182:183], v[172:173]
	v_pk_mul_f32 v[182:183], v[40:41], s[30:31] op_sel_hi:[1,0]
	v_pk_mul_f32 v[50:51], v[50:51], s[46:47] op_sel_hi:[1,0]
	v_pk_fma_f32 v[184:185], v[38:39], s[28:29], v[182:183] op_sel:[0,0,1] op_sel_hi:[1,0,0] neg_lo:[0,0,1] neg_hi:[0,0,1]
	v_pk_fma_f32 v[182:183], v[38:39], s[28:29], v[182:183] op_sel:[0,0,1] op_sel_hi:[1,0,0]
	v_mov_b32_e32 v186, v184
	v_mov_b32_e32 v187, v183
	v_pk_add_f32 v[172:173], v[186:187], v[172:173]
	v_pk_mul_f32 v[186:187], v[36:37], s[44:45] op_sel_hi:[1,0]
	v_mov_b32_e32 v169, v171
	v_pk_fma_f32 v[188:189], v[34:35], s[4:5], v[186:187] op_sel:[0,0,1] op_sel_hi:[1,0,0] neg_lo:[0,0,1] neg_hi:[0,0,1]
	v_pk_fma_f32 v[186:187], v[34:35], s[4:5], v[186:187] op_sel:[0,0,1] op_sel_hi:[1,0,0]
	v_mov_b32_e32 v190, v188
	v_mov_b32_e32 v191, v187
	v_pk_add_f32 v[172:173], v[190:191], v[172:173]
	v_pk_mul_f32 v[190:191], v[58:59], s[40:41] op_sel_hi:[1,0]
	v_mov_b32_e32 v211, v213
	;; [unrolled: 7-line block ×4, first 2 shown]
	v_pk_fma_f32 v[200:201], v[68:69], s[6:7], v[198:199] op_sel:[0,0,1] op_sel_hi:[1,0,0] neg_lo:[0,0,1] neg_hi:[0,0,1]
	v_pk_fma_f32 v[198:199], v[68:69], s[6:7], v[198:199] op_sel:[0,0,1] op_sel_hi:[1,0,0]
	v_mov_b32_e32 v202, v200
	v_mov_b32_e32 v203, v199
	v_pk_add_f32 v[172:173], v[202:203], v[172:173]
	v_pk_mul_f32 v[202:203], v[54:55], s[30:31] op_sel_hi:[1,0]
	v_pk_mul_f32 v[54:55], v[54:55], s[38:39] op_sel_hi:[1,0]
	v_pk_fma_f32 v[206:207], v[48:49], s[28:29], v[202:203] op_sel:[0,0,1] op_sel_hi:[1,0,0] neg_lo:[0,0,1] neg_hi:[0,0,1]
	v_pk_fma_f32 v[202:203], v[48:49], s[28:29], v[202:203] op_sel:[0,0,1] op_sel_hi:[1,0,0]
	v_mov_b32_e32 v208, v206
	v_mov_b32_e32 v209, v203
	v_pk_add_f32 v[208:209], v[208:209], v[0:1]
	v_mov_b32_e32 v203, v207
	v_pk_add_f32 v[208:209], v[214:215], v[208:209]
	v_pk_mul_f32 v[214:215], v[44:45], s[36:37] op_sel_hi:[1,0]
	v_pk_mul_f32 v[44:45], v[44:45], s[30:31] op_sel_hi:[1,0]
	v_pk_fma_f32 v[216:217], v[42:43], s[4:5], v[214:215] op_sel:[0,0,1] op_sel_hi:[1,0,0] neg_lo:[0,0,1] neg_hi:[0,0,1]
	v_pk_fma_f32 v[214:215], v[42:43], s[4:5], v[214:215] op_sel:[0,0,1] op_sel_hi:[1,0,0]
	v_mov_b32_e32 v218, v216
	v_mov_b32_e32 v219, v215
	v_pk_add_f32 v[208:209], v[218:219], v[208:209]
	v_pk_mul_f32 v[218:219], v[40:41], s[54:55] op_sel_hi:[1,0]
	v_pk_mul_f32 v[40:41], v[40:41], s[48:49] op_sel_hi:[1,0]
	v_pk_fma_f32 v[220:221], v[38:39], s[22:23], v[218:219] op_sel:[0,0,1] op_sel_hi:[1,0,0] neg_lo:[0,0,1] neg_hi:[0,0,1]
	v_pk_fma_f32 v[218:219], v[38:39], s[22:23], v[218:219] op_sel:[0,0,1] op_sel_hi:[1,0,0]
	v_mov_b32_e32 v222, v220
	;; [unrolled: 7-line block ×3, first 2 shown]
	v_mov_b32_e32 v227, v223
	v_pk_add_f32 v[208:209], v[226:227], v[208:209]
	v_pk_mul_f32 v[226:227], v[58:59], s[38:39] op_sel_hi:[1,0]
	v_mov_b32_e32 v215, v217
	v_pk_fma_f32 v[228:229], v[56:57], s[34:35], v[226:227] op_sel:[0,0,1] op_sel_hi:[1,0,0] neg_lo:[0,0,1] neg_hi:[0,0,1]
	v_pk_fma_f32 v[226:227], v[56:57], s[34:35], v[226:227] op_sel:[0,0,1] op_sel_hi:[1,0,0]
	v_mov_b32_e32 v230, v228
	v_mov_b32_e32 v231, v227
	v_pk_add_f32 v[208:209], v[230:231], v[208:209]
	v_pk_mul_f32 v[230:231], v[62:63], s[48:49] op_sel_hi:[1,0]
	v_mov_b32_e32 v219, v221
	v_pk_fma_f32 v[232:233], v[60:61], s[14:15], v[230:231] op_sel:[0,0,1] op_sel_hi:[1,0,0] neg_lo:[0,0,1] neg_hi:[0,0,1]
	v_pk_fma_f32 v[230:231], v[60:61], s[14:15], v[230:231] op_sel:[0,0,1] op_sel_hi:[1,0,0]
	v_mov_b32_e32 v236, v232
	;; [unrolled: 7-line block ×3, first 2 shown]
	v_mov_b32_e32 v241, v237
	v_pk_add_f32 v[208:209], v[240:241], v[208:209]
	ds_write2_b64 v83, v[172:173], v[208:209] offset0:6 offset1:7
	v_pk_fma_f32 v[172:173], v[48:49], s[34:35], v[54:55] op_sel:[0,0,1] op_sel_hi:[1,0,0] neg_lo:[0,0,1] neg_hi:[0,0,1]
	v_pk_fma_f32 v[48:49], v[48:49], s[34:35], v[54:55] op_sel:[0,0,1] op_sel_hi:[1,0,0]
	v_pk_fma_f32 v[54:55], v[46:47], s[16:17], v[50:51] op_sel:[0,0,1] op_sel_hi:[1,0,0] neg_lo:[0,0,1] neg_hi:[0,0,1]
	v_pk_fma_f32 v[46:47], v[46:47], s[16:17], v[50:51] op_sel:[0,0,1] op_sel_hi:[1,0,0]
	v_mov_b32_e32 v50, v172
	v_mov_b32_e32 v51, v49
	v_pk_add_f32 v[50:51], v[50:51], v[0:1]
	v_mov_b32_e32 v208, v54
	v_mov_b32_e32 v209, v47
	v_pk_add_f32 v[50:51], v[208:209], v[50:51]
	v_pk_fma_f32 v[208:209], v[42:43], s[28:29], v[44:45] op_sel:[0,0,1] op_sel_hi:[1,0,0] neg_lo:[0,0,1] neg_hi:[0,0,1]
	v_pk_fma_f32 v[42:43], v[42:43], s[28:29], v[44:45] op_sel:[0,0,1] op_sel_hi:[1,0,0]
	v_mov_b32_e32 v44, v208
	v_mov_b32_e32 v45, v43
	v_pk_add_f32 v[44:45], v[44:45], v[50:51]
	v_pk_fma_f32 v[50:51], v[38:39], s[14:15], v[40:41] op_sel:[0,0,1] op_sel_hi:[1,0,0] neg_lo:[0,0,1] neg_hi:[0,0,1]
	v_pk_fma_f32 v[38:39], v[38:39], s[14:15], v[40:41] op_sel:[0,0,1] op_sel_hi:[1,0,0]
	;; [unrolled: 5-line block ×3, first 2 shown]
	v_mov_b32_e32 v36, v44
	v_mov_b32_e32 v37, v35
	v_pk_add_f32 v[36:37], v[36:37], v[40:41]
	v_pk_mul_f32 v[40:41], v[58:59], s[42:43] op_sel_hi:[1,0]
	v_mov_b32_e32 v49, v173
	v_pk_fma_f32 v[58:59], v[56:57], s[6:7], v[40:41] op_sel:[0,0,1] op_sel_hi:[1,0,0] neg_lo:[0,0,1] neg_hi:[0,0,1]
	v_pk_fma_f32 v[40:41], v[56:57], s[6:7], v[40:41] op_sel:[0,0,1] op_sel_hi:[1,0,0]
	v_mov_b32_e32 v56, v58
	v_mov_b32_e32 v57, v41
	;; [unrolled: 1-line block ×3, first 2 shown]
	v_pk_add_f32 v[48:49], v[48:49], v[0:1]
	v_pk_add_f32 v[36:37], v[56:57], v[36:37]
	v_pk_mul_f32 v[56:57], v[62:63], s[20:21] op_sel_hi:[1,0]
	v_pk_add_f32 v[46:47], v[46:47], v[48:49]
	v_mov_b32_e32 v43, v209
	v_pk_fma_f32 v[62:63], v[60:61], s[18:19], v[56:57] op_sel:[0,0,1] op_sel_hi:[1,0,0] neg_lo:[0,0,1] neg_hi:[0,0,1]
	v_pk_fma_f32 v[56:57], v[60:61], s[18:19], v[56:57] op_sel:[0,0,1] op_sel_hi:[1,0,0]
	v_pk_add_f32 v[42:43], v[42:43], v[46:47]
	v_mov_b32_e32 v39, v51
	v_mov_b32_e32 v60, v62
	;; [unrolled: 1-line block ×3, first 2 shown]
	v_pk_add_f32 v[38:39], v[38:39], v[42:43]
	v_mov_b32_e32 v35, v45
	v_pk_add_f32 v[36:37], v[60:61], v[36:37]
	v_pk_mul_f32 v[60:61], v[78:79], s[44:45] op_sel_hi:[1,0]
	v_pk_add_f32 v[34:35], v[34:35], v[38:39]
	v_mov_b32_e32 v41, v59
	v_pk_fma_f32 v[78:79], v[68:69], s[4:5], v[60:61] op_sel:[0,0,1] op_sel_hi:[1,0,0] neg_lo:[0,0,1] neg_hi:[0,0,1]
	v_pk_fma_f32 v[60:61], v[68:69], s[4:5], v[60:61] op_sel:[0,0,1] op_sel_hi:[1,0,0]
	v_pk_add_f32 v[34:35], v[40:41], v[34:35]
	v_mov_b32_e32 v57, v63
	v_mov_b32_e32 v68, v78
	;; [unrolled: 1-line block ×3, first 2 shown]
	v_pk_add_f32 v[34:35], v[56:57], v[34:35]
	v_mov_b32_e32 v61, v79
	v_pk_add_f32 v[36:37], v[68:69], v[36:37]
	v_pk_add_f32 v[34:35], v[60:61], v[34:35]
	ds_write2_b64 v83, v[36:37], v[34:35] offset0:8 offset1:9
	v_pk_add_f32 v[34:35], v[202:203], v[0:1]
	v_pk_add_f32 v[36:37], v[168:169], v[0:1]
	;; [unrolled: 1-line block ×7, first 2 shown]
	v_mov_b32_e32 v223, v225
	v_pk_add_f32 v[36:37], v[182:183], v[36:37]
	v_mov_b32_e32 v187, v189
	v_pk_add_f32 v[34:35], v[222:223], v[34:35]
	;; [unrolled: 2-line block ×8, first 2 shown]
	v_pk_add_f32 v[36:37], v[198:199], v[36:37]
	v_mov_b32_e32 v85, v139
	v_mov_b32_e32 v107, v109
	ds_write2_b64 v83, v[34:35], v[36:37] offset0:10 offset1:11
	v_mov_b32_e32 v141, v143
	v_pk_add_f32 v[34:35], v[84:85], v[0:1]
	v_mov_b32_e32 v111, v113
	v_pk_add_f32 v[36:37], v[106:107], v[0:1]
	v_pk_add_f32 v[34:35], v[140:141], v[34:35]
	v_mov_b32_e32 v147, v145
	v_pk_add_f32 v[36:37], v[110:111], v[36:37]
	v_mov_b32_e32 v117, v115
	;; [unrolled: 2-line block ×12, first 2 shown]
	v_pk_add_f32 v[34:35], v[166:167], v[34:35]
	v_pk_add_f32 v[36:37], v[136:137], v[36:37]
	v_mov_b32_e32 v67, v65
	v_mov_b32_e32 v5, v3
	ds_write2_b64 v83, v[34:35], v[36:37] offset0:12 offset1:13
	v_pk_add_f32 v[34:35], v[66:67], v[0:1]
	v_mov_b32_e32 v73, v71
	v_pk_add_f32 v[0:1], v[4:5], v[0:1]
	v_mov_b32_e32 v9, v7
	v_pk_add_f32 v[34:35], v[72:73], v[34:35]
	v_mov_b32_e32 v77, v75
	v_pk_add_f32 v[0:1], v[8:9], v[0:1]
	v_mov_b32_e32 v13, v11
	v_pk_add_f32 v[34:35], v[76:77], v[34:35]
	v_mov_b32_e32 v89, v87
	v_pk_add_f32 v[0:1], v[12:13], v[0:1]
	v_mov_b32_e32 v17, v15
	v_pk_add_f32 v[34:35], v[88:89], v[34:35]
	v_mov_b32_e32 v93, v91
	v_pk_add_f32 v[0:1], v[16:17], v[0:1]
	v_mov_b32_e32 v21, v19
	v_pk_add_f32 v[34:35], v[92:93], v[34:35]
	v_mov_b32_e32 v97, v95
	v_pk_add_f32 v[0:1], v[20:21], v[0:1]
	v_mov_b32_e32 v25, v23
	v_pk_add_f32 v[34:35], v[96:97], v[34:35]
	v_mov_b32_e32 v101, v99
	v_pk_add_f32 v[0:1], v[24:25], v[0:1]
	v_mov_b32_e32 v29, v27
	v_pk_add_f32 v[34:35], v[100:101], v[34:35]
	v_mov_b32_e32 v105, v103
	v_pk_add_f32 v[0:1], v[28:29], v[0:1]
	v_mov_b32_e32 v33, v31
	v_pk_add_f32 v[34:35], v[104:105], v[34:35]
	v_pk_add_f32 v[0:1], v[32:33], v[0:1]
	ds_write2_b64 v83, v[34:35], v[0:1] offset0:14 offset1:15
	ds_write_b64 v83, v[52:53] offset:128
.LBB0_7:
	s_or_b64 exec, exec, s[0:1]
	s_mov_b64 s[0:1], 0x198
	v_lshl_add_u64 v[0:1], v[242:243], 0, s[0:1]
	s_mov_b64 s[0:1], 0x264
	v_lshl_add_u64 v[4:5], v[242:243], 0, s[0:1]
	s_mov_b64 s[0:1], 0x2ca
	s_load_dwordx4 s[4:7], s[2:3], 0x0
	v_lshl_add_u64 v[6:7], v[242:243], 0, s[0:1]
	s_mov_b32 s2, 0xf0f1
	v_mul_u32_u24_sdwa v7, v4, s2 dst_sel:DWORD dst_unused:UNUSED_PAD src0_sel:WORD_0 src1_sel:DWORD
	v_lshrrev_b32_e32 v8, 20, v7
	v_mul_u32_u24_sdwa v48, v6, s2 dst_sel:DWORD dst_unused:UNUSED_PAD src0_sel:WORD_0 src1_sel:DWORD
	v_mul_lo_u16_e32 v1, 17, v8
	v_lshrrev_b32_e32 v16, 20, v48
	v_sub_u16_e32 v9, v4, v1
	v_mul_lo_u16_e32 v2, 17, v16
	v_mul_u32_u24_sdwa v15, v0, s2 dst_sel:DWORD dst_unused:UNUSED_PAD src0_sel:WORD_0 src1_sel:DWORD
	v_lshlrev_b32_e32 v1, 3, v9
	v_sub_u16_e32 v17, v6, v2
	v_lshrrev_b32_e32 v10, 20, v15
	s_waitcnt lgkmcnt(0)
	s_barrier
	v_lshlrev_b32_e32 v2, 3, v17
	global_load_dwordx2 v[90:91], v1, s[10:11]
	global_load_dwordx2 v[106:107], v2, s[10:11]
	v_mul_lo_u16_e32 v1, 17, v10
	v_sub_u16_e32 v11, v0, v1
	v_add_u16_e32 v1, 0x1fe, v242
	v_mul_u32_u24_e32 v14, 0xf0f1, v1
	v_lshrrev_b32_e32 v18, 20, v14
	v_mul_lo_u16_e32 v3, 17, v18
	v_sub_u16_e32 v19, v1, v3
	s_mov_b64 s[0:1], 0xcc
	v_lshlrev_b32_e32 v2, 3, v11
	v_lshlrev_b32_e32 v3, 3, v19
	v_lshl_add_u64 v[12:13], v[242:243], 0, s[0:1]
	s_mov_b64 s[0:1], 0x132
	global_load_dwordx2 v[88:89], v2, s[10:11]
	global_load_dwordx2 v[104:105], v3, s[10:11]
	v_lshl_add_u64 v[2:3], v[242:243], 0, s[0:1]
	v_mul_u32_u24_sdwa v3, v2, s2 dst_sel:DWORD dst_unused:UNUSED_PAD src0_sel:WORD_0 src1_sel:DWORD
	v_lshrrev_b32_e32 v21, 20, v3
	v_mul_u32_u24_sdwa v13, v12, s2 dst_sel:DWORD dst_unused:UNUSED_PAD src0_sel:WORD_0 src1_sel:DWORD
	v_mul_lo_u16_e32 v22, 17, v21
	v_lshrrev_b32_e32 v20, 20, v13
	v_sub_u16_e32 v22, v2, v22
	v_mul_lo_u16_e32 v5, 17, v20
	v_lshlrev_b32_e32 v23, 3, v22
	global_load_dwordx2 v[102:103], v23, s[10:11]
	v_sub_u16_e32 v23, v12, v5
	v_lshlrev_b32_e32 v5, 3, v23
	global_load_dwordx2 v[80:81], v5, s[10:11]
	s_movk_i32 s0, 0xf1
	v_add_u16_e32 v5, 0x66, v242
	v_mul_lo_u16_sdwa v49, v5, s0 dst_sel:DWORD dst_unused:UNUSED_PAD src0_sel:BYTE_0 src1_sel:DWORD
	v_lshrrev_b16_e32 v24, 12, v49
	v_mul_lo_u16_e32 v25, 17, v24
	v_sub_u16_e32 v25, v5, v25
	v_and_b32_e32 v25, 0xff, v25
	v_lshlrev_b32_e32 v26, 3, v25
	v_mul_lo_u16_sdwa v50, v242, s0 dst_sel:DWORD dst_unused:UNUSED_PAD src0_sel:BYTE_0 src1_sel:DWORD
	global_load_dwordx2 v[86:87], v26, s[10:11]
	v_lshrrev_b16_e32 v26, 12, v50
	v_mul_lo_u16_e32 v27, 17, v26
	v_sub_u16_e32 v27, v242, v27
	v_and_b32_e32 v27, 0xff, v27
	v_lshlrev_b32_e32 v28, 3, v27
	global_load_dwordx2 v[100:101], v28, s[10:11]
	v_mov_b32_e32 v28, 3
	v_lshlrev_b32_sdwa v205, v28, v242 dst_sel:DWORD dst_unused:UNUSED_PAD src0_sel:DWORD src1_sel:WORD_0
	v_mad_legacy_u16 v10, v10, 34, v11
	v_lshlrev_b32_e32 v96, 3, v10
	v_mad_legacy_u16 v10, v18, 34, v19
	v_mad_legacy_u16 v8, v8, 34, v9
	v_add_u32_e32 v56, 0x2800, v205
	v_lshlrev_b32_e32 v97, 3, v10
	v_lshlrev_b32_e32 v98, 3, v8
	ds_read2_b64 v[8:11], v56 offset0:148 offset1:250
	v_mad_legacy_u16 v16, v16, 34, v17
	v_add_u32_e32 v57, 0x1000, v205
	v_mad_legacy_u16 v20, v20, 34, v23
	v_lshlrev_b32_e32 v99, 3, v16
	ds_read2_b64 v[16:19], v57 offset0:100 offset1:202
	v_lshlrev_b32_e32 v94, 3, v20
	v_mad_legacy_u16 v20, v21, 34, v22
	v_lshlrev_b32_e32 v95, 3, v20
	v_add_u32_e32 v51, 0x2400, v205
	v_add_u32_e32 v58, 0x800, v205
	v_mul_lo_u16_e32 v26, 34, v26
	v_mul_u32_u24_e32 v24, 34, v24
	v_and_b32_e32 v26, 0xfe, v26
	v_add_lshl_u32 v93, v24, v25, 3
	v_add_lshl_u32 v92, v26, v27, 3
	v_add_u32_e32 v59, 0x1c00, v205
	v_add_u32_e32 v60, 0x400, v205
	;; [unrolled: 1-line block ×3, first 2 shown]
	s_movk_i32 s14, 0x44
	v_cmp_gt_u16_e64 s[0:1], 34, v242
	s_waitcnt vmcnt(6) lgkmcnt(1)
	v_pk_mul_f32 v[20:21], v[10:11], v[106:107] op_sel:[0,1]
	s_nop 0
	v_pk_fma_f32 v[22:23], v[10:11], v[106:107], v[20:21] op_sel:[0,0,1] op_sel_hi:[1,1,0] neg_lo:[0,0,1] neg_hi:[0,0,1]
	v_pk_fma_f32 v[10:11], v[10:11], v[106:107], v[20:21] op_sel:[0,0,1] op_sel_hi:[1,0,0]
	s_nop 0
	v_mov_b32_e32 v23, v11
	v_pk_mul_f32 v[10:11], v[8:9], v[90:91] op_sel:[0,1]
	s_waitcnt lgkmcnt(0)
	v_pk_add_f32 v[32:33], v[18:19], v[22:23] neg_lo:[0,1] neg_hi:[0,1]
	v_pk_fma_f32 v[20:21], v[8:9], v[90:91], v[10:11] op_sel:[0,0,1] op_sel_hi:[1,1,0] neg_lo:[0,0,1] neg_hi:[0,0,1]
	v_pk_fma_f32 v[22:23], v[8:9], v[90:91], v[10:11] op_sel:[0,0,1] op_sel_hi:[1,0,0]
	ds_read2_b64 v[8:11], v51 offset0:72 offset1:174
	v_mov_b32_e32 v21, v23
	v_pk_add_f32 v[34:35], v[16:17], v[20:21] neg_lo:[0,1] neg_hi:[0,1]
	ds_read2_b64 v[20:23], v58 offset0:152 offset1:254
	s_waitcnt vmcnt(4) lgkmcnt(1)
	v_pk_mul_f32 v[24:25], v[10:11], v[104:105] op_sel:[0,1]
	s_nop 0
	v_pk_fma_f32 v[26:27], v[10:11], v[104:105], v[24:25] op_sel:[0,0,1] op_sel_hi:[1,1,0] neg_lo:[0,0,1] neg_hi:[0,0,1]
	v_pk_fma_f32 v[10:11], v[10:11], v[104:105], v[24:25] op_sel:[0,0,1] op_sel_hi:[1,0,0]
	s_nop 0
	v_mov_b32_e32 v27, v11
	v_pk_mul_f32 v[10:11], v[8:9], v[88:89] op_sel:[0,1]
	s_waitcnt lgkmcnt(0)
	v_pk_add_f32 v[36:37], v[22:23], v[26:27] neg_lo:[0,1] neg_hi:[0,1]
	v_pk_fma_f32 v[24:25], v[8:9], v[88:89], v[10:11] op_sel:[0,0,1] op_sel_hi:[1,1,0] neg_lo:[0,0,1] neg_hi:[0,0,1]
	v_pk_fma_f32 v[26:27], v[8:9], v[88:89], v[10:11] op_sel:[0,0,1] op_sel_hi:[1,0,0]
	ds_read2_b64 v[8:11], v59 offset0:124 offset1:226
	v_mov_b32_e32 v25, v27
	v_pk_add_f32 v[38:39], v[20:21], v[24:25] neg_lo:[0,1] neg_hi:[0,1]
	ds_read2_b64 v[24:27], v60 offset0:76 offset1:178
	s_waitcnt vmcnt(3) lgkmcnt(1)
	v_pk_mul_f32 v[28:29], v[10:11], v[102:103] op_sel:[0,1]
	s_nop 0
	v_pk_fma_f32 v[30:31], v[10:11], v[102:103], v[28:29] op_sel:[0,0,1] op_sel_hi:[1,1,0] neg_lo:[0,0,1] neg_hi:[0,0,1]
	v_pk_fma_f32 v[10:11], v[10:11], v[102:103], v[28:29] op_sel:[0,0,1] op_sel_hi:[1,0,0]
	s_nop 0
	v_mov_b32_e32 v31, v11
	s_waitcnt lgkmcnt(0)
	v_pk_add_f32 v[40:41], v[26:27], v[30:31] neg_lo:[0,1] neg_hi:[0,1]
	ds_read2_b64 v[28:31], v61 offset0:48 offset1:150
	s_waitcnt vmcnt(2)
	v_pk_mul_f32 v[10:11], v[8:9], v[80:81] op_sel:[0,1]
	s_waitcnt vmcnt(1) lgkmcnt(0)
	v_pk_mul_f32 v[44:45], v[30:31], v[86:87] op_sel:[0,1]
	v_pk_fma_f32 v[42:43], v[8:9], v[80:81], v[10:11] op_sel:[0,0,1] op_sel_hi:[1,1,0] neg_lo:[0,0,1] neg_hi:[0,0,1]
	v_pk_fma_f32 v[8:9], v[8:9], v[80:81], v[10:11] op_sel:[0,0,1] op_sel_hi:[1,0,0]
	v_pk_fma_f32 v[46:47], v[30:31], v[86:87], v[44:45] op_sel:[0,0,1] op_sel_hi:[1,1,0] neg_lo:[0,0,1] neg_hi:[0,0,1]
	v_mov_b32_e32 v43, v9
	ds_read2_b64 v[8:11], v205 offset1:102
	v_pk_fma_f32 v[30:31], v[30:31], v[86:87], v[44:45] op_sel:[0,0,1] op_sel_hi:[1,0,0]
	s_waitcnt vmcnt(0)
	v_pk_mul_f32 v[44:45], v[28:29], v[100:101] op_sel:[0,1]
	v_mov_b32_e32 v47, v31
	v_pk_add_f32 v[42:43], v[24:25], v[42:43] neg_lo:[0,1] neg_hi:[0,1]
	s_waitcnt lgkmcnt(0)
	v_pk_add_f32 v[30:31], v[10:11], v[46:47] neg_lo:[0,1] neg_hi:[0,1]
	v_pk_fma_f32 v[46:47], v[28:29], v[100:101], v[44:45] op_sel:[0,0,1] op_sel_hi:[1,1,0] neg_lo:[0,0,1] neg_hi:[0,0,1]
	v_pk_fma_f32 v[28:29], v[28:29], v[100:101], v[44:45] op_sel:[0,0,1] op_sel_hi:[1,0,0]
	v_pk_fma_f32 v[10:11], v[10:11], 2.0, v[30:31] op_sel_hi:[1,0,1] neg_lo:[0,0,1] neg_hi:[0,0,1]
	v_mov_b32_e32 v47, v29
	v_pk_add_f32 v[28:29], v[8:9], v[46:47] neg_lo:[0,1] neg_hi:[0,1]
	s_nop 0
	v_pk_fma_f32 v[8:9], v[8:9], 2.0, v[28:29] op_sel_hi:[1,0,1] neg_lo:[0,0,1] neg_hi:[0,0,1]
	s_barrier
	ds_write2_b64 v92, v[8:9], v[28:29] offset1:17
	ds_write2_b64 v93, v[10:11], v[30:31] offset1:17
	v_pk_fma_f32 v[8:9], v[24:25], 2.0, v[42:43] op_sel_hi:[1,0,1] neg_lo:[0,0,1] neg_hi:[0,0,1]
	ds_write2_b64 v94, v[8:9], v[42:43] offset1:17
	v_pk_fma_f32 v[8:9], v[26:27], 2.0, v[40:41] op_sel_hi:[1,0,1] neg_lo:[0,0,1] neg_hi:[0,0,1]
	;; [unrolled: 2-line block ×6, first 2 shown]
	v_lshrrev_b32_e32 v44, 21, v48
	ds_write2_b64 v99, v[8:9], v[32:33] offset1:17
	v_mul_lo_u16_e32 v8, 34, v44
	v_sub_u16_e32 v45, v6, v8
	v_lshlrev_b32_e32 v6, 3, v45
	s_waitcnt lgkmcnt(0)
	s_barrier
	global_load_dwordx2 v[240:241], v6, s[10:11] offset:136
	v_lshrrev_b32_e32 v22, 21, v7
	v_mul_lo_u16_e32 v6, 34, v22
	v_sub_u16_e32 v4, v4, v6
	v_lshlrev_b32_e32 v6, 3, v4
	global_load_dwordx2 v[238:239], v6, s[10:11] offset:136
	v_lshrrev_b32_e32 v23, 21, v14
	v_mul_lo_u16_e32 v6, 34, v23
	v_sub_u16_e32 v24, v1, v6
	v_lshlrev_b32_e32 v6, 3, v24
	;; [unrolled: 5-line block ×3, first 2 shown]
	v_lshrrev_b32_e32 v27, 21, v3
	global_load_dwordx2 v[128:129], v6, s[10:11] offset:136
	v_mul_lo_u16_e32 v6, 34, v27
	v_sub_u16_e32 v28, v2, v6
	v_lshlrev_b32_e32 v6, 3, v28
	v_lshrrev_b32_e32 v29, 21, v13
	global_load_dwordx2 v[126:127], v6, s[10:11] offset:136
	v_mul_lo_u16_e32 v6, 34, v29
	v_sub_u16_e32 v30, v12, v6
	v_lshlrev_b32_e32 v6, 3, v30
	v_lshrrev_b16_e32 v31, 13, v49
	global_load_dwordx2 v[124:125], v6, s[10:11] offset:136
	v_mul_lo_u16_e32 v6, 34, v31
	v_sub_u16_e32 v6, v5, v6
	v_and_b32_e32 v32, 0xff, v6
	v_lshlrev_b32_e32 v6, 3, v32
	v_lshrrev_b16_e32 v33, 13, v50
	global_load_dwordx2 v[114:115], v6, s[10:11] offset:136
	v_mul_lo_u16_e32 v6, 34, v33
	v_sub_u16_e32 v6, v242, v6
	v_and_b32_e32 v34, 0xff, v6
	v_lshlrev_b32_e32 v6, 3, v34
	global_load_dwordx2 v[112:113], v6, s[10:11] offset:136
	ds_read2_b64 v[6:9], v56 offset0:148 offset1:250
	ds_read2_b64 v[16:19], v57 offset0:100 offset1:202
	v_mad_legacy_u16 v4, v22, s14, v4
	v_lshlrev_b32_e32 v122, 3, v4
	v_mad_legacy_u16 v4, v44, s14, v45
	v_lshlrev_b32_e32 v123, 3, v4
	v_add_u32_e32 v4, 0xc00, v205
	s_waitcnt vmcnt(7) lgkmcnt(1)
	v_pk_mul_f32 v[10:11], v[8:9], v[240:241] op_sel:[0,1]
	s_nop 0
	v_pk_fma_f32 v[20:21], v[8:9], v[240:241], v[10:11] op_sel:[0,0,1] op_sel_hi:[1,0,0]
	v_pk_fma_f32 v[8:9], v[8:9], v[240:241], v[10:11] op_sel:[0,0,1] op_sel_hi:[1,0,0] neg_lo:[0,0,1] neg_hi:[0,0,1]
	s_nop 0
	v_mov_b32_e32 v9, v21
	s_waitcnt lgkmcnt(0)
	v_pk_add_f32 v[54:55], v[18:19], v[8:9] neg_lo:[0,1] neg_hi:[0,1]
	v_mul_lo_u16_e32 v8, 0x44, v33
	v_and_b32_e32 v8, 0xfc, v8
	v_add_lshl_u32 v116, v8, v34, 3
	v_mul_u32_u24_e32 v8, 0x44, v31
	v_add_lshl_u32 v117, v8, v32, 3
	v_mad_legacy_u16 v8, v29, s14, v30
	v_lshlrev_b32_e32 v118, 3, v8
	v_mad_legacy_u16 v8, v27, s14, v28
	v_lshlrev_b32_e32 v119, 3, v8
	;; [unrolled: 2-line block ×4, first 2 shown]
	s_waitcnt vmcnt(6)
	v_pk_mul_f32 v[20:21], v[6:7], v[238:239] op_sel:[0,1]
	ds_read2_b64 v[8:11], v51 offset0:72 offset1:174
	v_pk_fma_f32 v[22:23], v[6:7], v[238:239], v[20:21] op_sel:[0,0,1] op_sel_hi:[1,1,0] neg_lo:[0,0,1] neg_hi:[0,0,1]
	v_pk_fma_f32 v[6:7], v[6:7], v[238:239], v[20:21] op_sel:[0,0,1] op_sel_hi:[1,0,0]
	s_nop 0
	v_mov_b32_e32 v23, v7
	v_pk_add_f32 v[34:35], v[16:17], v[22:23] neg_lo:[0,1] neg_hi:[0,1]
	ds_read2_b64 v[20:23], v58 offset0:152 offset1:254
	s_waitcnt vmcnt(5) lgkmcnt(1)
	v_pk_mul_f32 v[6:7], v[10:11], v[236:237] op_sel:[0,1]
                                        ; implicit-def: $vgpr58
	s_nop 0
	v_pk_fma_f32 v[24:25], v[10:11], v[236:237], v[6:7] op_sel:[0,0,1] op_sel_hi:[1,1,0] neg_lo:[0,0,1] neg_hi:[0,0,1]
	v_pk_fma_f32 v[6:7], v[10:11], v[236:237], v[6:7] op_sel:[0,0,1] op_sel_hi:[1,0,0]
	s_nop 0
	v_mov_b32_e32 v25, v7
	s_waitcnt lgkmcnt(0)
	v_pk_add_f32 v[10:11], v[22:23], v[24:25] neg_lo:[0,1] neg_hi:[0,1]
	ds_read2_b64 v[24:27], v59 offset0:124 offset1:226
	s_waitcnt vmcnt(4)
	v_pk_mul_f32 v[6:7], v[8:9], v[128:129] op_sel:[0,1]
	s_nop 0
	v_pk_fma_f32 v[28:29], v[8:9], v[128:129], v[6:7] op_sel:[0,0,1] op_sel_hi:[1,1,0] neg_lo:[0,0,1] neg_hi:[0,0,1]
	v_pk_fma_f32 v[6:7], v[8:9], v[128:129], v[6:7] op_sel:[0,0,1] op_sel_hi:[1,0,0]
	s_nop 0
	v_mov_b32_e32 v29, v7
	ds_read2_b64 v[6:9], v60 offset0:76 offset1:178
	v_pk_add_f32 v[36:37], v[20:21], v[28:29] neg_lo:[0,1] neg_hi:[0,1]
	s_waitcnt vmcnt(3) lgkmcnt(1)
	v_pk_mul_f32 v[28:29], v[26:27], v[126:127] op_sel:[0,1]
	s_nop 0
	v_pk_fma_f32 v[30:31], v[26:27], v[126:127], v[28:29] op_sel:[0,0,1] op_sel_hi:[1,1,0] neg_lo:[0,0,1] neg_hi:[0,0,1]
	v_pk_fma_f32 v[26:27], v[26:27], v[126:127], v[28:29] op_sel:[0,0,1] op_sel_hi:[1,0,0]
	s_nop 0
	v_mov_b32_e32 v31, v27
	s_waitcnt lgkmcnt(0)
	v_pk_add_f32 v[38:39], v[8:9], v[30:31] neg_lo:[0,1] neg_hi:[0,1]
	s_waitcnt vmcnt(2)
	v_pk_mul_f32 v[30:31], v[24:25], v[124:125] op_sel:[0,1]
	ds_read2_b64 v[26:29], v61 offset0:48 offset1:150
	v_pk_fma_f32 v[32:33], v[24:25], v[124:125], v[30:31] op_sel:[0,0,1] op_sel_hi:[1,1,0] neg_lo:[0,0,1] neg_hi:[0,0,1]
	v_pk_fma_f32 v[24:25], v[24:25], v[124:125], v[30:31] op_sel:[0,0,1] op_sel_hi:[1,0,0]
	s_waitcnt vmcnt(1) lgkmcnt(0)
	v_pk_mul_f32 v[40:41], v[28:29], v[114:115] op_sel:[0,1]
	v_mov_b32_e32 v33, v25
	v_pk_add_f32 v[24:25], v[6:7], v[32:33] neg_lo:[0,1] neg_hi:[0,1]
	ds_read2_b64 v[30:33], v205 offset1:102
	v_pk_fma_f32 v[42:43], v[28:29], v[114:115], v[40:41] op_sel:[0,0,1] op_sel_hi:[1,1,0] neg_lo:[0,0,1] neg_hi:[0,0,1]
	v_pk_fma_f32 v[28:29], v[28:29], v[114:115], v[40:41] op_sel:[0,0,1] op_sel_hi:[1,0,0]
	s_waitcnt vmcnt(0)
	v_pk_mul_f32 v[40:41], v[26:27], v[112:113] op_sel:[0,1]
	v_mov_b32_e32 v43, v29
	s_waitcnt lgkmcnt(0)
	v_pk_add_f32 v[28:29], v[32:33], v[42:43] neg_lo:[0,1] neg_hi:[0,1]
	v_pk_fma_f32 v[42:43], v[26:27], v[112:113], v[40:41] op_sel:[0,0,1] op_sel_hi:[1,1,0] neg_lo:[0,0,1] neg_hi:[0,0,1]
	v_pk_fma_f32 v[26:27], v[26:27], v[112:113], v[40:41] op_sel:[0,0,1] op_sel_hi:[1,0,0]
	v_pk_fma_f32 v[6:7], v[6:7], 2.0, v[24:25] op_sel_hi:[1,0,1] neg_lo:[0,0,1] neg_hi:[0,0,1]
	v_mov_b32_e32 v43, v27
	v_pk_add_f32 v[26:27], v[30:31], v[42:43] neg_lo:[0,1] neg_hi:[0,1]
	v_pk_fma_f32 v[32:33], v[32:33], 2.0, v[28:29] op_sel_hi:[1,0,1] neg_lo:[0,0,1] neg_hi:[0,0,1]
	v_pk_fma_f32 v[30:31], v[30:31], 2.0, v[26:27] op_sel_hi:[1,0,1] neg_lo:[0,0,1] neg_hi:[0,0,1]
	s_barrier
	ds_write2_b64 v116, v[30:31], v[26:27] offset1:34
	ds_write2_b64 v117, v[32:33], v[28:29] offset1:34
	;; [unrolled: 1-line block ×3, first 2 shown]
	v_pk_fma_f32 v[6:7], v[8:9], 2.0, v[38:39] op_sel_hi:[1,0,1] neg_lo:[0,0,1] neg_hi:[0,0,1]
	ds_write2_b64 v119, v[6:7], v[38:39] offset1:34
	v_pk_fma_f32 v[6:7], v[20:21], 2.0, v[36:37] op_sel_hi:[1,0,1] neg_lo:[0,0,1] neg_hi:[0,0,1]
	ds_write2_b64 v120, v[6:7], v[36:37] offset1:34
	;; [unrolled: 2-line block ×5, first 2 shown]
	s_waitcnt lgkmcnt(0)
	s_barrier
	ds_read2_b64 v[24:27], v4 offset0:24 offset1:160
	v_add_u32_e32 v4, 0x2000, v205
	ds_read2_b64 v[44:47], v205 offset1:102
	ds_read2_b64 v[48:51], v4 offset0:64 offset1:166
	ds_read2_b64 v[40:43], v57 offset0:134 offset1:236
	;; [unrolled: 1-line block ×5, first 2 shown]
	ds_read_b64 v[56:57], v205 offset:11968
                                        ; implicit-def: $vgpr60
	s_and_saveexec_b64 s[2:3], s[0:1]
	s_cbranch_execz .LBB0_9
; %bb.8:
	ds_read_b64 v[58:59], v205 offset:12784
	ds_read_b64 v[54:55], v205 offset:4080
	;; [unrolled: 1-line block ×3, first 2 shown]
	s_waitcnt lgkmcnt(2)
	v_mov_b32_e32 v60, v59
.LBB0_9:
	s_or_b64 exec, exec, s[2:3]
	v_lshrrev_b32_e32 v76, 22, v13
	v_mul_lo_u16_e32 v13, 0x44, v76
	s_movk_i32 s2, 0xffbc
	v_sub_u16_e32 v77, v12, v13
	s_mov_b32 s3, -1
	v_lshlrev_b16_e32 v12, 4, v77
	v_mov_b32_e32 v13, 0
	v_lshrrev_b32_e32 v3, 22, v3
	v_lshl_add_u64 v[6:7], v[242:243], 0, s[2:3]
	v_cmp_gt_u16_e64 s[2:3], s14, v242
	v_lshl_add_u64 v[22:23], s[10:11], 0, v[12:13]
	v_mul_lo_u16_e32 v12, 0x44, v3
	v_cndmask_b32_e64 v21, v7, 0, s[2:3]
	v_cndmask_b32_e64 v20, v6, v242, s[2:3]
	s_movk_i32 s2, 0x79
	v_sub_u16_e32 v2, v2, v12
	v_mul_lo_u16_sdwa v4, v5, s2 dst_sel:DWORD dst_unused:UNUSED_PAD src0_sel:BYTE_0 src1_sel:DWORD
	v_lshlrev_b16_e32 v12, 4, v2
	v_lshrrev_b32_e32 v78, 22, v15
	v_lshl_add_u64 v[16:17], v[20:21], 4, s[10:11]
	v_lshrrev_b16_e32 v21, 13, v4
	v_lshl_add_u64 v[62:63], s[10:11], 0, v[12:13]
	v_mul_lo_u16_e32 v12, 0x44, v78
	v_mul_lo_u16_e32 v4, 0x44, v21
	v_sub_u16_e32 v0, v0, v12
	v_sub_u16_e32 v4, v5, v4
	v_lshlrev_b16_e32 v12, 4, v0
	v_and_b32_e32 v59, 0xff, v4
	v_lshl_add_u64 v[64:65], s[10:11], 0, v[12:13]
	v_lshrrev_b32_e32 v12, 22, v14
	v_lshlrev_b32_e32 v18, 4, v59
	global_load_dwordx4 v[8:11], v[16:17], off offset:408
	global_load_dwordx4 v[4:7], v18, s[10:11] offset:408
	v_mul_lo_u16_e32 v12, 0x44, v12
	v_sub_u16_e32 v1, v1, v12
	v_lshlrev_b16_e32 v12, 4, v1
	v_lshl_add_u64 v[66:67], s[10:11], 0, v[12:13]
	global_load_dwordx4 v[108:111], v[66:67], off offset:408
	global_load_dwordx4 v[16:19], v[22:23], off offset:408
	;; [unrolled: 1-line block ×3, first 2 shown]
	s_movk_i32 s2, 0x43
	v_mov_b32_e32 v22, 0xcc
	v_cmp_lt_u16_e64 s[2:3], s2, v242
	s_waitcnt lgkmcnt(0)
	v_mov_b32_e32 v64, v53
	v_mul_u32_u24_e32 v53, 0xcc, v21
	v_cndmask_b32_e64 v22, 0, v22, s[2:3]
	v_add_lshl_u32 v234, v20, v22, 3
	global_load_dwordx4 v[20:23], v[62:63], off offset:408
	s_mov_b32 s14, 0x3f5db3d7
	s_movk_i32 s15, 0xcc
	v_add_lshl_u32 v243, v53, v59, 3
	s_barrier
	v_mad_legacy_u16 v2, v3, s15, v2
	v_lshlrev_b32_e32 v254, 3, v2
	v_mad_legacy_u16 v0, v78, s15, v0
	v_lshlrev_b32_e32 v255, 3, v0
	v_lshlrev_b32_e32 v249, 3, v1
	s_waitcnt vmcnt(5)
	v_pk_mul_f32 v[62:63], v[26:27], v[8:9] op_sel:[0,1]
	v_mov_b32_e32 v66, v11
	v_pk_fma_f32 v[68:69], v[26:27], v[8:9], v[62:63] op_sel:[0,0,1] op_sel_hi:[1,1,0] neg_lo:[0,0,1] neg_hi:[0,0,1]
	v_pk_fma_f32 v[26:27], v[26:27], v[8:9], v[62:63] op_sel:[0,0,1] op_sel_hi:[1,0,0]
	v_pk_mul_f32 v[62:63], v[48:49], v[66:67] op_sel_hi:[1,0]
	v_mov_b32_e32 v69, v27
	v_pk_fma_f32 v[26:27], v[48:49], v[10:11], v[62:63] op_sel:[0,0,1] op_sel_hi:[1,1,0] neg_lo:[0,0,1] neg_hi:[0,0,1]
	v_pk_fma_f32 v[48:49], v[48:49], v[10:11], v[62:63] op_sel:[0,0,1] op_sel_hi:[1,0,0]
	s_waitcnt vmcnt(3)
	v_pk_mul_f32 v[64:65], v[64:65], v[108:109] op_sel_hi:[0,1]
	v_mov_b32_e32 v27, v49
	v_pk_add_f32 v[48:49], v[44:45], v[68:69]
	v_pk_mul_f32 v[60:61], v[60:61], v[110:111] op_sel_hi:[0,1]
	v_pk_add_f32 v[66:67], v[48:49], v[26:27]
	v_pk_add_f32 v[70:71], v[68:69], v[26:27]
	v_pk_add_f32 v[68:69], v[68:69], v[26:27] neg_lo:[0,1] neg_hi:[0,1]
	v_pk_fma_f32 v[74:75], v[52:53], v[108:109], v[64:65] op_sel:[0,0,1] op_sel_hi:[0,1,0]
	v_pk_fma_f32 v[26:27], v[52:53], v[108:109], v[64:65] op_sel:[0,0,1] op_sel_hi:[0,1,0] neg_lo:[0,0,1] neg_hi:[0,0,1]
	v_pk_fma_f32 v[52:53], v[58:59], v[110:111], v[60:61] op_sel:[0,0,1] op_sel_hi:[0,1,0]
	v_pk_fma_f32 v[48:49], v[58:59], v[110:111], v[60:61] op_sel:[0,0,1] op_sel_hi:[0,1,0] neg_lo:[0,0,1] neg_hi:[0,0,1]
	v_pk_mul_f32 v[62:63], v[40:41], v[4:5] op_sel:[0,1]
	v_pk_fma_f32 v[44:45], v[70:71], 0.5, v[44:45] op_sel_hi:[1,0,1] neg_lo:[1,0,0] neg_hi:[1,0,0]
	v_pk_mul_f32 v[58:59], v[68:69], s[14:15] op_sel_hi:[1,0]
	v_mov_b32_e32 v27, v75
	v_mov_b32_e32 v49, v53
	v_pk_fma_f32 v[72:73], v[40:41], v[4:5], v[62:63] op_sel:[0,0,1] op_sel_hi:[1,1,0] neg_lo:[0,0,1] neg_hi:[0,0,1]
	v_pk_add_f32 v[52:53], v[44:45], v[58:59] op_sel:[0,1] op_sel_hi:[1,0]
	v_pk_add_f32 v[44:45], v[44:45], v[58:59] op_sel:[0,1] op_sel_hi:[1,0] neg_lo:[0,1] neg_hi:[0,1]
	v_pk_add_f32 v[58:59], v[26:27], v[48:49]
	v_pk_add_f32 v[60:61], v[26:27], v[48:49] neg_lo:[0,1] neg_hi:[0,1]
	v_pk_fma_f32 v[40:41], v[40:41], v[4:5], v[62:63] op_sel:[0,0,1] op_sel_hi:[1,0,0]
	v_mov_b32_e32 v64, v52
	v_mov_b32_e32 v65, v45
	v_mov_b32_e32 v45, v53
	v_pk_fma_f32 v[52:53], v[58:59], 0.5, v[54:55] op_sel_hi:[1,0,1] neg_lo:[1,0,0] neg_hi:[1,0,0]
	v_pk_mul_f32 v[58:59], v[60:61], s[14:15] op_sel_hi:[1,0]
	v_mov_b32_e32 v40, v7
	ds_write2_b64 v234, v[66:67], v[64:65] offset1:68
	ds_write_b64 v234, v[44:45] offset:1088
	v_pk_add_f32 v[44:45], v[52:53], v[58:59] op_sel:[0,1] op_sel_hi:[1,0]
	v_pk_add_f32 v[244:245], v[52:53], v[58:59] op_sel:[0,1] op_sel_hi:[1,0] neg_lo:[0,1] neg_hi:[0,1]
	v_mov_b32_e32 v73, v41
	v_pk_mul_f32 v[40:41], v[50:51], v[40:41] op_sel_hi:[1,0]
	v_mov_b32_e32 v134, v44
	v_mov_b32_e32 v135, v245
	;; [unrolled: 1-line block ×3, first 2 shown]
	v_pk_fma_f32 v[44:45], v[50:51], v[6:7], v[40:41] op_sel:[0,0,1] op_sel_hi:[1,1,0] neg_lo:[0,0,1] neg_hi:[0,0,1]
	v_pk_fma_f32 v[40:41], v[50:51], v[6:7], v[40:41] op_sel:[0,0,1] op_sel_hi:[1,0,0]
	s_nop 0
	v_mov_b32_e32 v45, v41
	v_pk_add_f32 v[40:41], v[46:47], v[72:73]
	v_pk_add_f32 v[50:51], v[72:73], v[44:45]
	;; [unrolled: 1-line block ×3, first 2 shown]
	v_pk_add_f32 v[44:45], v[72:73], v[44:45] neg_lo:[0,1] neg_hi:[0,1]
	v_pk_fma_f32 v[46:47], v[50:51], 0.5, v[46:47] op_sel_hi:[1,0,1] neg_lo:[1,0,0] neg_hi:[1,0,0]
	v_pk_mul_f32 v[44:45], v[44:45], s[14:15] op_sel_hi:[1,0]
	s_nop 0
	v_pk_add_f32 v[50:51], v[46:47], v[44:45] op_sel:[0,1] op_sel_hi:[1,0]
	v_pk_add_f32 v[44:45], v[46:47], v[44:45] op_sel:[0,1] op_sel_hi:[1,0] neg_lo:[0,1] neg_hi:[0,1]
	v_mov_b32_e32 v46, v50
	v_mov_b32_e32 v47, v45
	ds_write2_b64 v243, v[40:41], v[46:47] offset1:68
	v_mad_legacy_u16 v40, v76, s15, v77
	v_mov_b32_e32 v45, v51
	v_lshlrev_b32_e32 v248, 3, v40
	s_waitcnt vmcnt(2)
	v_pk_mul_f32 v[40:41], v[42:43], v[16:17] op_sel:[0,1]
	ds_write_b64 v243, v[44:45] offset:1088
	v_pk_fma_f32 v[44:45], v[42:43], v[16:17], v[40:41] op_sel:[0,0,1] op_sel_hi:[1,1,0] neg_lo:[0,0,1] neg_hi:[0,0,1]
	v_pk_fma_f32 v[40:41], v[42:43], v[16:17], v[40:41] op_sel:[0,0,1] op_sel_hi:[1,0,0]
	s_nop 0
	v_mov_b32_e32 v40, v19
	v_mov_b32_e32 v45, v41
	v_pk_mul_f32 v[40:41], v[36:37], v[40:41] op_sel_hi:[1,0]
	s_nop 0
	v_pk_fma_f32 v[42:43], v[36:37], v[18:19], v[40:41] op_sel:[0,0,1] op_sel_hi:[1,1,0] neg_lo:[0,0,1] neg_hi:[0,0,1]
	v_pk_fma_f32 v[36:37], v[36:37], v[18:19], v[40:41] op_sel:[0,0,1] op_sel_hi:[1,0,0]
	s_nop 0
	v_mov_b32_e32 v43, v37
	v_pk_add_f32 v[36:37], v[44:45], v[42:43]
	v_pk_add_f32 v[40:41], v[44:45], v[42:43] neg_lo:[0,1] neg_hi:[0,1]
	v_pk_fma_f32 v[36:37], v[36:37], 0.5, v[32:33] op_sel_hi:[1,0,1] neg_lo:[1,0,0] neg_hi:[1,0,0]
	v_pk_mul_f32 v[40:41], v[40:41], s[14:15] op_sel_hi:[1,0]
	v_pk_add_f32 v[32:33], v[32:33], v[44:45]
	v_pk_add_f32 v[46:47], v[36:37], v[40:41] op_sel:[0,1] op_sel_hi:[1,0] neg_lo:[0,1] neg_hi:[0,1]
	v_pk_add_f32 v[36:37], v[36:37], v[40:41] op_sel:[0,1] op_sel_hi:[1,0]
	v_pk_add_f32 v[32:33], v[32:33], v[42:43]
	v_mov_b32_e32 v40, v36
	v_mov_b32_e32 v41, v47
	ds_write2_b64 v248, v[32:33], v[40:41] offset1:68
	s_waitcnt vmcnt(0)
	v_pk_mul_f32 v[32:33], v[28:29], v[20:21] op_sel:[0,1]
	v_mov_b32_e32 v47, v37
	v_pk_fma_f32 v[36:37], v[28:29], v[20:21], v[32:33] op_sel:[0,0,1] op_sel_hi:[1,1,0] neg_lo:[0,0,1] neg_hi:[0,0,1]
	v_pk_fma_f32 v[28:29], v[28:29], v[20:21], v[32:33] op_sel:[0,0,1] op_sel_hi:[1,0,0]
	ds_write_b64 v248, v[46:47] offset:1088
	v_mov_b32_e32 v28, v23
	v_mov_b32_e32 v37, v29
	v_pk_mul_f32 v[28:29], v[38:39], v[28:29] op_sel_hi:[1,0]
	s_nop 0
	v_pk_fma_f32 v[32:33], v[38:39], v[22:23], v[28:29] op_sel:[0,0,1] op_sel_hi:[1,1,0] neg_lo:[0,0,1] neg_hi:[0,0,1]
	v_pk_fma_f32 v[28:29], v[38:39], v[22:23], v[28:29] op_sel:[0,0,1] op_sel_hi:[1,0,0]
	s_nop 0
	v_mov_b32_e32 v33, v29
	v_pk_add_f32 v[28:29], v[36:37], v[32:33]
	v_pk_add_f32 v[38:39], v[36:37], v[32:33] neg_lo:[0,1] neg_hi:[0,1]
	v_pk_fma_f32 v[28:29], v[28:29], 0.5, v[34:35] op_sel_hi:[1,0,1] neg_lo:[1,0,0] neg_hi:[1,0,0]
	v_pk_mul_f32 v[38:39], v[38:39], s[14:15] op_sel_hi:[1,0]
	v_pk_add_f32 v[34:35], v[34:35], v[36:37]
	v_pk_add_f32 v[40:41], v[28:29], v[38:39] op_sel:[0,1] op_sel_hi:[1,0] neg_lo:[0,1] neg_hi:[0,1]
	v_pk_add_f32 v[28:29], v[28:29], v[38:39] op_sel:[0,1] op_sel_hi:[1,0]
	v_pk_add_f32 v[32:33], v[34:35], v[32:33]
	v_mov_b32_e32 v34, v28
	v_mov_b32_e32 v35, v41
	v_mov_b32_e32 v41, v29
	v_pk_mul_f32 v[28:29], v[30:31], v[12:13] op_sel:[0,1]
	ds_write2_b64 v254, v[32:33], v[34:35] offset1:68
	v_pk_fma_f32 v[32:33], v[30:31], v[12:13], v[28:29] op_sel:[0,0,1] op_sel_hi:[1,1,0] neg_lo:[0,0,1] neg_hi:[0,0,1]
	v_pk_fma_f32 v[28:29], v[30:31], v[12:13], v[28:29] op_sel:[0,0,1] op_sel_hi:[1,0,0]
	ds_write_b64 v254, v[40:41] offset:1088
	v_mov_b32_e32 v28, v15
	v_mov_b32_e32 v33, v29
	v_pk_mul_f32 v[28:29], v[56:57], v[28:29] op_sel_hi:[1,0]
	s_nop 0
	v_pk_fma_f32 v[30:31], v[56:57], v[14:15], v[28:29] op_sel:[0,0,1] op_sel_hi:[1,1,0] neg_lo:[0,0,1] neg_hi:[0,0,1]
	v_pk_fma_f32 v[28:29], v[56:57], v[14:15], v[28:29] op_sel:[0,0,1] op_sel_hi:[1,0,0]
	s_nop 0
	v_mov_b32_e32 v31, v29
	v_pk_add_f32 v[28:29], v[32:33], v[30:31]
	v_pk_add_f32 v[34:35], v[32:33], v[30:31] neg_lo:[0,1] neg_hi:[0,1]
	v_pk_fma_f32 v[28:29], v[28:29], 0.5, v[24:25] op_sel_hi:[1,0,1] neg_lo:[1,0,0] neg_hi:[1,0,0]
	v_pk_mul_f32 v[34:35], v[34:35], s[14:15] op_sel_hi:[1,0]
	v_pk_add_f32 v[24:25], v[24:25], v[32:33]
	v_pk_add_f32 v[36:37], v[28:29], v[34:35] op_sel:[0,1] op_sel_hi:[1,0] neg_lo:[0,1] neg_hi:[0,1]
	v_pk_add_f32 v[28:29], v[28:29], v[34:35] op_sel:[0,1] op_sel_hi:[1,0]
	v_pk_add_f32 v[24:25], v[24:25], v[30:31]
	v_mov_b32_e32 v30, v28
	v_mov_b32_e32 v31, v37
	;; [unrolled: 1-line block ×3, first 2 shown]
	ds_write2_b64 v255, v[24:25], v[30:31] offset1:68
	ds_write_b64 v255, v[36:37] offset:1088
	s_and_saveexec_b64 s[2:3], s[0:1]
	s_cbranch_execz .LBB0_11
; %bb.10:
	v_pk_add_f32 v[24:25], v[54:55], v[26:27]
	v_add_u32_e32 v0, 0x2800, v249
	v_pk_add_f32 v[24:25], v[24:25], v[48:49]
	ds_write2_b64 v0, v[24:25], v[134:135] offset0:148 offset1:216
	ds_write_b64 v249, v[244:245] offset:12512
.LBB0_11:
	s_or_b64 exec, exec, s[2:3]
	v_add_u32_e32 v0, 0x400, v205
	v_add_u32_e32 v1, 0x1000, v205
	;; [unrolled: 1-line block ×4, first 2 shown]
	v_mad_u64_u32 v[28:29], s[2:3], v242, 56, s[10:11]
	s_waitcnt lgkmcnt(0)
	s_barrier
	ds_read2_b64 v[70:73], v0 offset0:76 offset1:178
	ds_read2_b64 v[74:77], v1 offset0:100 offset1:202
	;; [unrolled: 1-line block ×4, first 2 shown]
	global_load_dwordx4 v[24:27], v[28:29], off offset:1528
	global_load_dwordx4 v[32:35], v[28:29], off offset:1512
	;; [unrolled: 1-line block ×3, first 2 shown]
	global_load_dwordx2 v[252:253], v[28:29], off offset:1544
	s_movk_i32 s16, 0x1000
	s_mov_b64 s[2:3], 0x1c28
	v_lshl_add_u64 v[40:41], v[28:29], 0, s[2:3]
	v_add_co_u32_e64 v28, s[2:3], s16, v28
	s_waitcnt vmcnt(2) lgkmcnt(2)
	v_pk_mul_f32 v[30:31], v[74:75], v[32:33]
	s_nop 0
	v_mov_b32_e32 v31, v30
	v_mov_b32_e32 v36, v33
	v_pk_fma_f32 v[48:49], v[74:75], v[32:33], v[30:31] neg_lo:[1,0,0] neg_hi:[1,0,0]
	v_mov_b32_e32 v30, v75
	v_pk_mul_f32 v[36:37], v[74:75], v[36:37]
	v_addc_co_u32_e64 v29, s[2:3], 0, v29, s[2:3]
	v_pk_fma_f32 v[50:51], v[30:31], v[32:33], v[36:37]
	s_waitcnt vmcnt(0) lgkmcnt(0)
	v_pk_mul_f32 v[30:31], v[66:67], v[252:253]
	v_mov_b32_e32 v36, v253
	v_mov_b32_e32 v31, v30
	v_pk_fma_f32 v[52:53], v[66:67], v[252:253], v[30:31] neg_lo:[1,0,0] neg_hi:[1,0,0]
	v_mov_b32_e32 v30, v67
	v_pk_mul_f32 v[36:37], v[66:67], v[36:37]
	v_pk_mul_f32 v[56:57], v[70:71], v[44:45] op_sel:[0,1]
	v_pk_fma_f32 v[54:55], v[30:31], v[252:253], v[36:37]
	global_load_dwordx4 v[36:39], v[28:29], off offset:3112
	s_nop 0
	global_load_dwordx4 v[28:31], v[40:41], off offset:32
	global_load_dwordx2 v[246:247], v[40:41], off offset:48
	v_pk_fma_f32 v[58:59], v[70:71], v[44:45], v[56:57] op_sel:[0,0,1] op_sel_hi:[1,1,0] neg_lo:[0,0,1] neg_hi:[0,0,1]
	global_load_dwordx4 v[40:43], v[40:41], off offset:16
	v_pk_fma_f32 v[56:57], v[70:71], v[44:45], v[56:57] op_sel:[0,0,1] op_sel_hi:[1,0,0]
	v_mov_b32_e32 v48, v47
	v_mov_b32_e32 v59, v57
	;; [unrolled: 1-line block ×3, first 2 shown]
	ds_read2_b64 v[136:139], v205 offset1:102
	v_mov_b32_e32 v51, v49
	v_mov_b32_e32 v55, v53
	s_mov_b32 s2, 0x3f3504f3
	s_waitcnt vmcnt(2)
	v_mov_b32_e32 v250, v31
	v_add_u32_e32 v31, 0x800, v205
	ds_read2_b64 v[130:133], v31 offset0:152 offset1:254
	v_mov_b32_e32 v74, v39
	v_add_u32_e32 v39, 0x1800, v205
	ds_read2_b64 v[140:143], v39 offset0:48 offset1:150
	s_waitcnt vmcnt(0)
	v_mov_b32_e32 v84, v43
	v_add_u32_e32 v43, 0x2400, v205
	s_waitcnt lgkmcnt(1)
	v_pk_mul_f32 v[56:57], v[130:131], v[46:47] op_sel_hi:[1,0]
	ds_read2_b64 v[144:147], v43 offset0:72 offset1:174
	v_pk_fma_f32 v[60:61], v[130:131], v[48:49], v[56:57] op_sel:[0,0,1] op_sel_hi:[1,1,0]
	v_pk_fma_f32 v[56:57], v[130:131], v[52:53], v[56:57] op_sel:[0,0,1] op_sel_hi:[1,0,0] neg_lo:[1,0,0] neg_hi:[1,0,0]
	v_mov_b32_e32 v48, v35
	v_mov_b32_e32 v61, v57
	s_waitcnt lgkmcnt(1)
	v_pk_mul_f32 v[56:57], v[140:141], v[48:49] op_sel_hi:[1,0]
	v_mov_b32_e32 v48, v27
	v_pk_fma_f32 v[66:67], v[140:141], v[34:35], v[56:57] op_sel:[0,0,1] op_sel_hi:[1,1,0] neg_lo:[0,0,1] neg_hi:[0,0,1]
	v_pk_fma_f32 v[56:57], v[140:141], v[34:35], v[56:57] op_sel:[0,0,1] op_sel_hi:[1,0,0]
	v_mov_b32_e32 v52, v27
	v_mov_b32_e32 v67, v57
	v_pk_mul_f32 v[56:57], v[62:63], v[24:25] op_sel:[0,1]
	v_mov_b32_e32 v130, v247
	v_pk_fma_f32 v[70:71], v[62:63], v[24:25], v[56:57] op_sel:[0,0,1] op_sel_hi:[1,1,0] neg_lo:[0,0,1] neg_hi:[0,0,1]
	v_pk_fma_f32 v[56:57], v[62:63], v[24:25], v[56:57] op_sel:[0,0,1] op_sel_hi:[1,0,0]
	v_mov_b32_e32 v131, v29
	v_mov_b32_e32 v71, v57
	s_waitcnt lgkmcnt(0)
	v_pk_mul_f32 v[56:57], v[144:145], v[26:27] op_sel_hi:[1,0]
	v_pk_add_f32 v[70:71], v[58:59], v[70:71] neg_lo:[0,1] neg_hi:[0,1]
	v_pk_fma_f32 v[62:63], v[144:145], v[48:49], v[56:57] op_sel:[0,0,1] op_sel_hi:[1,1,0]
	v_pk_fma_f32 v[56:57], v[144:145], v[52:53], v[56:57] op_sel:[0,0,1] op_sel_hi:[1,0,0] neg_lo:[1,0,0] neg_hi:[1,0,0]
	v_pk_add_f32 v[48:49], v[50:51], v[54:55] neg_lo:[0,1] neg_hi:[0,1]
	v_mov_b32_e32 v63, v57
	v_pk_add_f32 v[56:57], v[136:137], v[66:67] neg_lo:[0,1] neg_hi:[0,1]
	v_pk_add_f32 v[62:63], v[60:61], v[62:63] neg_lo:[0,1] neg_hi:[0,1]
	v_pk_fma_f32 v[66:67], v[136:137], 2.0, v[56:57] op_sel_hi:[1,0,1] neg_lo:[0,0,1] neg_hi:[0,0,1]
	v_pk_fma_f32 v[60:61], v[60:61], 2.0, v[62:63] op_sel_hi:[1,0,1] neg_lo:[0,0,1] neg_hi:[0,0,1]
	v_pk_fma_f32 v[58:59], v[58:59], 2.0, v[70:71] op_sel_hi:[1,0,1] neg_lo:[0,0,1] neg_hi:[0,0,1]
	v_pk_fma_f32 v[50:51], v[50:51], 2.0, v[48:49] op_sel_hi:[1,0,1] neg_lo:[0,0,1] neg_hi:[0,0,1]
	v_pk_add_f32 v[60:61], v[66:67], v[60:61] op_sel:[0,1] op_sel_hi:[1,0] neg_lo:[0,1] neg_hi:[0,1]
	v_pk_add_f32 v[52:53], v[56:57], v[62:63]
	v_fma_f32 v54, v66, 2.0, -v60
	v_fma_f32 v55, v67, 2.0, -v61
	v_pk_add_f32 v[66:67], v[56:57], v[62:63] neg_lo:[0,1] neg_hi:[0,1]
	v_pk_add_f32 v[62:63], v[58:59], v[50:51] op_sel:[1,0] op_sel_hi:[0,1] neg_lo:[0,1] neg_hi:[0,1]
	v_fma_f32 v50, v58, 2.0, -v63
	v_fma_f32 v51, v59, 2.0, -v62
	v_pk_add_f32 v[58:59], v[70:71], v[48:49] neg_lo:[0,1] neg_hi:[0,1]
	v_pk_add_f32 v[48:49], v[70:71], v[48:49]
	v_mov_b32_e32 v67, v53
	v_mov_b32_e32 v59, v49
	v_pk_fma_f32 v[56:57], v[56:57], 2.0, v[66:67] op_sel_hi:[1,0,1] neg_lo:[0,0,1] neg_hi:[0,0,1]
	v_pk_fma_f32 v[70:71], v[70:71], 2.0, v[58:59] op_sel_hi:[1,0,1] neg_lo:[0,0,1] neg_hi:[0,0,1]
	v_pk_add_f32 v[52:53], v[54:55], v[50:51] neg_lo:[0,1] neg_hi:[0,1]
	v_pk_mul_f32 v[50:51], v[70:71], s[2:3] op_sel_hi:[1,0]
	v_pk_fma_f32 v[70:71], v[70:71], s[2:3], v[56:57] op_sel_hi:[1,0,1] neg_lo:[1,0,0] neg_hi:[1,0,0]
	v_pk_fma_f32 v[48:49], v[54:55], 2.0, v[52:53] op_sel_hi:[1,0,1] neg_lo:[0,0,1] neg_hi:[0,0,1]
	v_pk_add_f32 v[54:55], v[70:71], v[50:51] op_sel:[0,1] op_sel_hi:[1,0] neg_lo:[0,1] neg_hi:[0,1]
	v_pk_add_f32 v[50:51], v[70:71], v[50:51] op_sel:[0,1] op_sel_hi:[1,0]
	v_pk_fma_f32 v[70:71], v[58:59], s[2:3], v[66:67] op_sel_hi:[1,0,1]
	v_mov_b32_e32 v55, v51
	v_pk_fma_f32 v[50:51], v[56:57], 2.0, v[54:55] op_sel_hi:[1,0,1] neg_lo:[0,0,1] neg_hi:[0,0,1]
	v_pk_add_f32 v[56:57], v[60:61], v[62:63] neg_lo:[0,1] neg_hi:[0,1]
	v_pk_add_f32 v[62:63], v[60:61], v[62:63]
	v_accvgpr_write_b32 a46, v84
	v_mov_b32_e32 v57, v63
	v_pk_mul_f32 v[62:63], v[58:59], s[2:3] op_sel_hi:[1,0]
	v_pk_fma_f32 v[60:61], v[60:61], 2.0, v[56:57] op_sel_hi:[1,0,1] neg_lo:[0,0,1] neg_hi:[0,0,1]
	v_pk_add_f32 v[58:59], v[70:71], v[62:63] op_sel:[0,1] op_sel_hi:[1,0] neg_lo:[0,1] neg_hi:[0,1]
	v_pk_add_f32 v[62:63], v[70:71], v[62:63] op_sel:[0,1] op_sel_hi:[1,0]
	v_accvgpr_write_b32 a48, v41
	v_mov_b32_e32 v59, v63
	v_pk_fma_f32 v[62:63], v[66:67], 2.0, v[58:59] op_sel_hi:[1,0,1] neg_lo:[0,0,1] neg_hi:[0,0,1]
	v_pk_mul_f32 v[66:67], v[132:133], v[38:39] op_sel_hi:[1,0]
	v_accvgpr_write_b32 a50, v247
	v_pk_fma_f32 v[70:71], v[132:133], v[74:75], v[66:67] op_sel:[0,0,1] op_sel_hi:[1,1,0]
	v_pk_fma_f32 v[66:67], v[132:133], v[74:75], v[66:67] op_sel:[0,0,1] op_sel_hi:[1,0,0] neg_lo:[1,0,0] neg_hi:[1,0,0]
	v_mov_b32_e32 v132, v74
	v_mov_b32_e32 v71, v67
	;; [unrolled: 1-line block ×9, first 2 shown]
	v_pk_mul_f32 v[78:79], v[72:73], v[76:77]
	s_nop 0
	v_pk_fma_f32 v[78:79], v[66:67], v[74:75], v[78:79] neg_lo:[0,0,1] neg_hi:[0,0,1]
	v_pk_mul_f32 v[66:67], v[66:67], v[76:77]
	s_nop 0
	v_pk_fma_f32 v[66:67], v[72:73], v[74:75], v[66:67]
	v_pk_mul_f32 v[72:73], v[142:143], v[84:85] op_sel_hi:[1,0]
	v_mov_b32_e32 v84, v246
	v_pk_fma_f32 v[74:75], v[142:143], v[42:43], v[72:73] op_sel:[0,0,1] op_sel_hi:[1,1,0] neg_lo:[0,0,1] neg_hi:[0,0,1]
	v_pk_fma_f32 v[72:73], v[142:143], v[42:43], v[72:73] op_sel:[0,0,1] op_sel_hi:[1,0,0]
	v_mov_b32_e32 v85, v28
	v_mov_b32_e32 v75, v73
	v_pk_mul_f32 v[72:73], v[146:147], v[30:31] op_sel_hi:[1,0]
	s_nop 0
	v_pk_fma_f32 v[76:77], v[146:147], v[250:251], v[72:73] op_sel:[0,0,1] op_sel_hi:[1,1,0]
	v_pk_fma_f32 v[72:73], v[146:147], v[250:251], v[72:73] op_sel:[0,0,1] op_sel_hi:[1,0,0] neg_lo:[1,0,0] neg_hi:[1,0,0]
	s_nop 0
	v_mov_b32_e32 v77, v73
	v_mov_b32_e32 v73, v64
	;; [unrolled: 1-line block ×4, first 2 shown]
	v_pk_mul_f32 v[68:69], v[64:65], v[130:131]
	v_pk_add_f32 v[76:77], v[70:71], v[76:77] neg_lo:[0,1] neg_hi:[0,1]
	v_pk_fma_f32 v[68:69], v[72:73], v[84:85], v[68:69] neg_lo:[0,0,1] neg_hi:[0,0,1]
	v_pk_mul_f32 v[72:73], v[72:73], v[130:131]
	v_pk_add_f32 v[68:69], v[78:79], v[68:69] neg_lo:[0,1] neg_hi:[0,1]
	v_pk_fma_f32 v[64:65], v[64:65], v[84:85], v[72:73]
	v_pk_add_f32 v[72:73], v[138:139], v[74:75] neg_lo:[0,1] neg_hi:[0,1]
	v_pk_add_f32 v[64:65], v[66:67], v[64:65] neg_lo:[0,1] neg_hi:[0,1]
	v_pk_fma_f32 v[74:75], v[138:139], 2.0, v[72:73] op_sel_hi:[1,0,1] neg_lo:[0,0,1] neg_hi:[0,0,1]
	v_pk_fma_f32 v[70:71], v[70:71], 2.0, v[76:77] op_sel_hi:[1,0,1] neg_lo:[0,0,1] neg_hi:[0,0,1]
	v_mov_b32_e32 v84, v67
	v_mov_b32_e32 v85, v79
	;; [unrolled: 1-line block ×7, first 2 shown]
	v_pk_fma_f32 v[66:67], v[66:67], 2.0, v[78:79] op_sel_hi:[1,0,1] neg_lo:[0,0,1] neg_hi:[0,0,1]
	v_pk_add_f32 v[78:79], v[74:75], v[70:71] op_sel:[0,1] op_sel_hi:[1,0] neg_lo:[0,1] neg_hi:[0,1]
	v_pk_fma_f32 v[84:85], v[84:85], 2.0, v[130:131] op_sel_hi:[1,0,1] neg_lo:[0,0,1] neg_hi:[0,0,1]
	v_pk_fma_f32 v[70:71], v[74:75], 2.0, v[78:79] op_sel_hi:[1,0,1] neg_lo:[0,0,1] neg_hi:[0,0,1]
	v_pk_add_f32 v[136:137], v[72:73], v[76:77] neg_lo:[0,1] neg_hi:[0,1]
	v_pk_add_f32 v[74:75], v[72:73], v[76:77]
	s_nop 0
	v_mov_b32_e32 v137, v75
	v_pk_add_f32 v[74:75], v[84:85], v[66:67] neg_lo:[0,1] neg_hi:[0,1]
	v_pk_fma_f32 v[72:73], v[72:73], 2.0, v[136:137] op_sel_hi:[1,0,1] neg_lo:[0,0,1] neg_hi:[0,0,1]
	v_pk_fma_f32 v[66:67], v[84:85], 2.0, v[74:75] op_sel_hi:[1,0,1] neg_lo:[0,0,1] neg_hi:[0,0,1]
	v_pk_add_f32 v[84:85], v[68:69], v[64:65] op_sel:[1,0] op_sel_hi:[0,1] neg_lo:[0,1] neg_hi:[0,1]
	v_pk_add_f32 v[64:65], v[68:69], v[64:65] op_sel:[1,0] op_sel_hi:[0,1]
	v_mov_b32_e32 v85, v65
	v_pk_add_f32 v[64:65], v[130:131], v[130:131]
	v_pk_add_f32 v[68:69], v[70:71], v[66:67] op_sel:[0,1] op_sel_hi:[1,0] neg_lo:[0,1] neg_hi:[0,1]
	v_pk_add_f32 v[76:77], v[64:65], v[84:85] op_sel:[1,0] op_sel_hi:[0,1] neg_lo:[0,1] neg_hi:[0,1]
	v_pk_mul_f32 v[66:67], v[76:77], s[2:3] op_sel_hi:[1,0]
	v_pk_fma_f32 v[76:77], v[76:77], s[2:3], v[72:73] op_sel_hi:[1,0,1] neg_lo:[1,0,0] neg_hi:[1,0,0]
	v_pk_fma_f32 v[64:65], v[70:71], 2.0, v[68:69] op_sel_hi:[1,0,1] neg_lo:[0,0,1] neg_hi:[0,0,1]
	v_pk_add_f32 v[70:71], v[76:77], v[66:67] op_sel:[0,1] op_sel_hi:[1,0] neg_lo:[0,1] neg_hi:[0,1]
	v_pk_add_f32 v[66:67], v[76:77], v[66:67] op_sel:[0,1] op_sel_hi:[1,0]
	s_nop 0
	v_mov_b32_e32 v71, v67
	v_pk_fma_f32 v[66:67], v[72:73], 2.0, v[70:71] op_sel_hi:[1,0,1] neg_lo:[0,0,1] neg_hi:[0,0,1]
	v_pk_add_f32 v[72:73], v[78:79], v[74:75] neg_lo:[0,1] neg_hi:[0,1]
	v_pk_add_f32 v[74:75], v[78:79], v[74:75]
	s_nop 0
	v_mov_b32_e32 v73, v75
	v_pk_fma_f32 v[76:77], v[78:79], 2.0, v[72:73] op_sel_hi:[1,0,1] neg_lo:[0,0,1] neg_hi:[0,0,1]
	v_pk_mul_f32 v[78:79], v[84:85], s[2:3] op_sel_hi:[1,0]
	v_pk_fma_f32 v[84:85], v[84:85], s[2:3], v[136:137] op_sel_hi:[1,0,1]
	s_nop 0
	v_pk_add_f32 v[74:75], v[84:85], v[78:79] op_sel:[0,1] op_sel_hi:[1,0] neg_lo:[0,1] neg_hi:[0,1]
	v_pk_add_f32 v[78:79], v[84:85], v[78:79] op_sel:[0,1] op_sel_hi:[1,0]
	s_nop 0
	v_mov_b32_e32 v75, v79
	v_pk_fma_f32 v[78:79], v[136:137], 2.0, v[74:75] op_sel_hi:[1,0,1] neg_lo:[0,0,1] neg_hi:[0,0,1]
	ds_write2_b64 v205, v[48:49], v[64:65] offset1:102
	ds_write2_b64 v0, v[50:51], v[66:67] offset0:76 offset1:178
	ds_write2_b64 v31, v[60:61], v[76:77] offset0:152 offset1:254
	;; [unrolled: 1-line block ×7, first 2 shown]
	s_waitcnt lgkmcnt(0)
	s_barrier
	s_and_saveexec_b64 s[10:11], vcc
	s_cbranch_execz .LBB0_13
; %bb.12:
	s_add_u32 s14, s8, 0x3300
	s_addc_u32 s15, s9, 0
	global_load_dwordx2 v[136:137], v82, s[14:15]
	ds_read_b64 v[84:85], v205
	v_mov_b32_e32 v83, 0
	v_lshl_add_u64 v[130:131], s[14:15], 0, v[82:83]
	s_waitcnt vmcnt(0) lgkmcnt(0)
	v_mul_f32_e32 v0, v85, v137
	v_mul_f32_e32 v139, v84, v137
	v_fma_f32 v138, v84, v136, -v0
	v_fmac_f32_e32 v139, v85, v136
	global_load_dwordx2 v[84:85], v82, s[14:15] offset:768
	ds_write_b64 v205, v[138:139]
	ds_read2_b64 v[136:139], v82 offset0:96 offset1:192
	s_waitcnt vmcnt(0) lgkmcnt(0)
	v_mul_f32_e32 v0, v137, v85
	v_mul_f32_e32 v141, v136, v85
	v_fma_f32 v140, v136, v84, -v0
	v_fmac_f32_e32 v141, v137, v84
	global_load_dwordx2 v[84:85], v82, s[14:15] offset:1536
	s_waitcnt vmcnt(0)
	v_mul_f32_e32 v0, v139, v85
	v_mul_f32_e32 v137, v138, v85
	v_fma_f32 v136, v138, v84, -v0
	v_fmac_f32_e32 v137, v139, v84
	global_load_dwordx2 v[84:85], v82, s[14:15] offset:2304
	v_add_u32_e32 v0, 0x800, v82
	ds_write2_b64 v82, v[140:141], v[136:137] offset0:96 offset1:192
	ds_read2_b64 v[136:139], v0 offset0:32 offset1:128
	s_waitcnt vmcnt(0) lgkmcnt(0)
	v_mul_f32_e32 v1, v137, v85
	v_mul_f32_e32 v141, v136, v85
	v_fma_f32 v140, v136, v84, -v1
	v_fmac_f32_e32 v141, v137, v84
	global_load_dwordx2 v[84:85], v82, s[14:15] offset:3072
	s_waitcnt vmcnt(0)
	v_mul_f32_e32 v1, v139, v85
	v_mul_f32_e32 v137, v138, v85
	v_fma_f32 v136, v138, v84, -v1
	v_fmac_f32_e32 v137, v139, v84
	global_load_dwordx2 v[84:85], v82, s[14:15] offset:3840
	ds_write2_b64 v0, v[140:141], v[136:137] offset0:32 offset1:128
	v_add_u32_e32 v0, 0xc00, v82
	ds_read2_b64 v[136:139], v0 offset0:96 offset1:192
	s_waitcnt vmcnt(0) lgkmcnt(0)
	v_mul_f32_e32 v1, v137, v85
	v_mul_f32_e32 v141, v136, v85
	v_fma_f32 v140, v136, v84, -v1
	v_fmac_f32_e32 v141, v137, v84
	v_add_co_u32_e64 v84, s[2:3], s16, v130
	s_nop 1
	v_addc_co_u32_e64 v85, s[2:3], 0, v131, s[2:3]
	global_load_dwordx2 v[136:137], v[84:85], off offset:512
	s_movk_i32 s2, 0x2000
	s_waitcnt vmcnt(0)
	v_mul_f32_e32 v1, v139, v137
	v_mul_f32_e32 v143, v138, v137
	v_fma_f32 v142, v138, v136, -v1
	v_fmac_f32_e32 v143, v139, v136
	ds_write2_b64 v0, v[140:141], v[142:143] offset0:96 offset1:192
	global_load_dwordx2 v[140:141], v[84:85], off offset:1280
	v_add_u32_e32 v0, 0x1400, v82
	ds_read2_b64 v[136:139], v0 offset0:32 offset1:128
	s_waitcnt vmcnt(0) lgkmcnt(0)
	v_mul_f32_e32 v1, v137, v141
	v_fma_f32 v142, v136, v140, -v1
	v_mul_f32_e32 v143, v136, v141
	v_or_b32_e32 v1, 0x1800, v82
	v_fmac_f32_e32 v143, v137, v140
	global_load_dwordx2 v[136:137], v1, s[14:15]
	s_waitcnt vmcnt(0)
	v_mul_f32_e32 v1, v139, v137
	v_mul_f32_e32 v141, v138, v137
	v_fma_f32 v140, v138, v136, -v1
	v_fmac_f32_e32 v141, v139, v136
	ds_write2_b64 v0, v[142:143], v[140:141] offset0:32 offset1:128
	global_load_dwordx2 v[140:141], v[84:85], off offset:2816
	v_add_u32_e32 v0, 0x1800, v82
	global_load_dwordx2 v[84:85], v[84:85], off offset:3584
	ds_read2_b64 v[136:139], v0 offset0:96 offset1:192
	s_waitcnt vmcnt(1) lgkmcnt(0)
	v_mul_f32_e32 v1, v137, v141
	v_mul_f32_e32 v143, v136, v141
	v_fma_f32 v142, v136, v140, -v1
	v_fmac_f32_e32 v143, v137, v140
	s_waitcnt vmcnt(0)
	v_mul_f32_e32 v1, v139, v85
	v_mul_f32_e32 v137, v138, v85
	v_fma_f32 v136, v138, v84, -v1
	v_fmac_f32_e32 v137, v139, v84
	v_add_co_u32_e64 v84, s[2:3], s2, v130
	ds_write2_b64 v0, v[142:143], v[136:137] offset0:96 offset1:192
	s_nop 0
	v_addc_co_u32_e64 v85, s[2:3], 0, v131, s[2:3]
	global_load_dwordx2 v[130:131], v[84:85], off offset:256
	v_add_u32_e32 v0, 0x2000, v82
	ds_read2_b64 v[136:139], v0 offset0:32 offset1:128
	s_waitcnt vmcnt(0) lgkmcnt(0)
	v_mul_f32_e32 v1, v137, v131
	v_fma_f32 v140, v136, v130, -v1
	v_mul_f32_e32 v141, v136, v131
	v_or_b32_e32 v1, 0x2400, v82
	v_fmac_f32_e32 v141, v137, v130
	global_load_dwordx2 v[130:131], v1, s[14:15]
	s_waitcnt vmcnt(0)
	v_mul_f32_e32 v1, v139, v131
	v_mul_f32_e32 v137, v138, v131
	v_fma_f32 v136, v138, v130, -v1
	v_fmac_f32_e32 v137, v139, v130
	global_load_dwordx2 v[130:131], v[84:85], off offset:1792
	ds_write2_b64 v0, v[140:141], v[136:137] offset0:32 offset1:128
	v_add_u32_e32 v0, 0x2400, v82
	ds_read2_b64 v[136:139], v0 offset0:96 offset1:192
	s_waitcnt vmcnt(0) lgkmcnt(0)
	v_mul_f32_e32 v1, v137, v131
	v_mul_f32_e32 v141, v136, v131
	v_fma_f32 v140, v136, v130, -v1
	v_fmac_f32_e32 v141, v137, v130
	global_load_dwordx2 v[130:131], v[84:85], off offset:2560
	s_waitcnt vmcnt(0)
	v_mul_f32_e32 v1, v139, v131
	global_load_dwordx2 v[84:85], v[84:85], off offset:3328
	v_mul_f32_e32 v137, v138, v131
	v_fma_f32 v136, v138, v130, -v1
	v_fmac_f32_e32 v137, v139, v130
	ds_write2_b64 v0, v[140:141], v[136:137] offset0:96 offset1:192
	v_add_u32_e32 v0, 0x2c00, v82
	ds_read2_b64 v[136:139], v0 offset0:32 offset1:128
	s_waitcnt vmcnt(0) lgkmcnt(0)
	v_mul_f32_e32 v1, v137, v85
	v_fma_f32 v130, v136, v84, -v1
	v_mul_f32_e32 v131, v136, v85
	v_or_b32_e32 v1, 0x3000, v82
	v_fmac_f32_e32 v131, v137, v84
	global_load_dwordx2 v[84:85], v1, s[14:15]
	s_waitcnt vmcnt(0)
	v_mul_f32_e32 v1, v139, v85
	v_mul_f32_e32 v137, v138, v85
	v_fma_f32 v136, v138, v84, -v1
	v_fmac_f32_e32 v137, v139, v84
	ds_write2_b64 v0, v[130:131], v[136:137] offset0:32 offset1:128
.LBB0_13:
	s_or_b64 exec, exec, s[10:11]
	s_waitcnt lgkmcnt(0)
	s_barrier
	s_and_saveexec_b64 s[2:3], vcc
	s_cbranch_execz .LBB0_15
; %bb.14:
	v_add_u32_e32 v0, 0x400, v205
	ds_read2_b64 v[60:63], v0 offset0:64 offset1:160
	v_add_u32_e32 v0, 0x800, v205
	ds_read2_b64 v[52:55], v0 offset0:128 offset1:224
	;; [unrolled: 2-line block ×3, first 2 shown]
	v_add_u32_e32 v0, 0x1800, v205
	ds_read2_b64 v[64:67], v0 offset1:96
	v_add_u32_e32 v0, 0x1c00, v205
	ds_read2_b64 v[76:79], v0 offset0:64 offset1:160
	v_add_u32_e32 v0, 0x2000, v205
	ds_read2_b64 v[68:71], v0 offset0:128 offset1:224
	v_add_u32_e32 v0, 0x2800, v205
	ds_read2_b64 v[48:51], v205 offset1:96
	ds_read2_b64 v[72:75], v0 offset0:64 offset1:160
	ds_read_b64 v[134:135], v205 offset:12288
.LBB0_15:
	s_or_b64 exec, exec, s[2:3]
	s_waitcnt lgkmcnt(1)
	v_pk_add_f32 v[84:85], v[60:61], v[74:75] neg_lo:[0,1] neg_hi:[0,1]
	v_pk_add_f32 v[188:189], v[60:61], v[74:75]
	v_mov_b32_e32 v171, v84
	v_mov_b32_e32 v170, v188
	v_mov_b32_e32 v188, v85
	v_pk_add_f32 v[84:85], v[62:63], v[72:73] neg_lo:[0,1] neg_hi:[0,1]
	v_pk_add_f32 v[190:191], v[62:63], v[72:73]
	v_mov_b32_e32 v173, v84
	v_mov_b32_e32 v172, v190
	v_mov_b32_e32 v190, v85
	;; [unrolled: 5-line block ×5, first 2 shown]
	v_pk_add_f32 v[84:85], v[58:59], v[76:77] neg_lo:[0,1] neg_hi:[0,1]
	v_pk_add_f32 v[198:199], v[58:59], v[76:77]
	s_waitcnt lgkmcnt(0)
	v_pk_add_f32 v[184:185], v[134:135], v[50:51]
	v_pk_add_f32 v[186:187], v[50:51], v[134:135] neg_lo:[0,1] neg_hi:[0,1]
	v_mov_b32_e32 v180, v198
	v_mov_b32_e32 v181, v84
	;; [unrolled: 1-line block ×3, first 2 shown]
	v_pk_add_f32 v[84:85], v[64:65], v[66:67] neg_lo:[0,1] neg_hi:[0,1]
	v_pk_add_f32 v[200:201], v[64:65], v[66:67]
	s_mov_b32 s44, 0xbeb8f4ab
	v_mov_b32_e32 v182, v200
	v_mov_b32_e32 v183, v84
	v_mov_b32_e32 v200, v85
	v_mov_b32_e32 v84, v187
	v_mov_b32_e32 v85, v185
	s_mov_b32 s45, 0x3f6eb680
	s_mov_b32 s56, 0xbf2c7751
	v_pk_mul_f32 v[84:85], v[84:85], s[44:45]
	v_mov_b32_e32 v216, v184
	v_mov_b32_e32 v217, v186
	s_mov_b32 s2, s45
	s_mov_b32 s3, s44
	;; [unrolled: 1-line block ×3, first 2 shown]
	v_pk_fma_f32 v[136:137], v[216:217], s[2:3], v[84:85] neg_lo:[0,0,1] neg_hi:[0,0,1]
	v_pk_fma_f32 v[130:131], v[216:217], s[2:3], v[84:85]
	v_pk_mul_f32 v[202:203], v[188:189], s[56:57]
	s_mov_b32 s24, s57
	s_mov_b32 s25, s56
	;; [unrolled: 1-line block ×3, first 2 shown]
	v_mov_b32_e32 v137, v131
	v_pk_fma_f32 v[166:167], v[170:171], s[24:25], v[202:203] neg_lo:[0,0,1] neg_hi:[0,0,1]
	v_pk_fma_f32 v[206:207], v[170:171], s[24:25], v[202:203]
	s_mov_b32 s59, 0x3ee437d1
	v_pk_add_f32 v[136:137], v[48:49], v[136:137]
	v_mov_b32_e32 v167, v207
	v_pk_mul_f32 v[208:209], v[190:191], s[58:59]
	s_mov_b32 s20, s59
	s_mov_b32 s21, s58
	s_mov_b32 s52, 0xbf7ee86f
	v_pk_add_f32 v[136:137], v[166:167], v[136:137]
	v_pk_fma_f32 v[166:167], v[172:173], s[20:21], v[208:209] neg_lo:[0,0,1] neg_hi:[0,0,1]
	v_pk_fma_f32 v[210:211], v[172:173], s[20:21], v[208:209]
	s_mov_b32 s53, 0x3dbcf732
	v_mov_b32_e32 v167, v211
	v_pk_mul_f32 v[212:213], v[192:193], s[52:53]
	s_mov_b32 s10, s53
	s_mov_b32 s11, s52
	s_mov_b32 s42, 0xbf763a35
	v_pk_add_f32 v[136:137], v[166:167], v[136:137]
	v_pk_fma_f32 v[166:167], v[174:175], s[10:11], v[212:213] neg_lo:[0,0,1] neg_hi:[0,0,1]
	v_pk_fma_f32 v[214:215], v[174:175], s[10:11], v[212:213]
	s_mov_b32 s43, 0xbe8c1d8e
	;; [unrolled: 9-line block ×5, first 2 shown]
	v_mov_b32_e32 v167, v229
	v_pk_mul_f32 v[230:231], v[200:201], s[50:51]
	s_mov_b32 s18, s51
	s_mov_b32 s19, s50
	v_pk_add_f32 v[136:137], v[166:167], v[136:137]
	v_pk_fma_f32 v[166:167], v[182:183], s[18:19], v[230:231] neg_lo:[0,0,1] neg_hi:[0,0,1]
	v_pk_fma_f32 v[232:233], v[182:183], s[18:19], v[230:231]
	v_mov_b32_e32 v164, v106
	v_mov_b32_e32 v167, v233
	;; [unrolled: 1-line block ×43, first 2 shown]
	v_pk_add_f32 v[136:137], v[166:167], v[136:137]
	v_mov_b32_e32 v168, v114
	v_mov_b32_e32 v169, v114
	;; [unrolled: 1-line block ×6, first 2 shown]
	s_barrier
	s_and_saveexec_b64 s[16:17], vcc
	s_cbranch_execz .LBB0_17
; %bb.16:
	v_pk_add_f32 v[50:51], v[50:51], v[48:49]
	v_pk_mul_f32 v[216:217], v[216:217], s[2:3]
	v_pk_add_f32 v[50:51], v[60:61], v[50:51]
	v_accvgpr_write_b32 a32, v236
	v_pk_add_f32 v[50:51], v[62:63], v[50:51]
	v_accvgpr_write_b32 a33, v237
	v_pk_add_f32 v[50:51], v[52:53], v[50:51]
	v_pk_mul_f32 v[236:237], v[170:171], s[24:25]
	v_pk_add_f32 v[50:51], v[54:55], v[50:51]
	v_accvgpr_write_b32 a34, v238
	v_pk_add_f32 v[50:51], v[56:57], v[50:51]
	v_pk_add_f32 v[52:53], v[84:85], v[216:217] neg_lo:[0,1] neg_hi:[0,1]
	v_pk_add_f32 v[50:51], v[58:59], v[50:51]
	v_accvgpr_write_b32 a35, v239
	v_pk_mul_f32 v[238:239], v[172:173], s[20:21]
	v_accvgpr_write_b32 a36, v240
	v_pk_add_f32 v[50:51], v[64:65], v[50:51]
	v_mov_b32_e32 v131, v53
	v_pk_add_f32 v[54:55], v[202:203], v[236:237] neg_lo:[0,1] neg_hi:[0,1]
	v_accvgpr_write_b32 a37, v241
	v_pk_mul_f32 v[240:241], v[174:175], s[10:11]
	v_pk_add_f32 v[50:51], v[66:67], v[50:51]
	v_pk_add_f32 v[52:53], v[48:49], v[130:131]
	v_mov_b32_e32 v207, v55
	v_pk_add_f32 v[54:55], v[208:209], v[238:239] neg_lo:[0,1] neg_hi:[0,1]
	v_accvgpr_write_b32 a0, v242
	v_accvgpr_write_b32 a1, v243
	v_pk_mul_f32 v[242:243], v[176:177], s[30:31]
	v_accvgpr_write_b32 a38, v244
	v_pk_add_f32 v[50:51], v[76:77], v[50:51]
	v_pk_add_f32 v[52:53], v[206:207], v[52:53]
	v_mov_b32_e32 v211, v55
	v_pk_add_f32 v[54:55], v[212:213], v[240:241] neg_lo:[0,1] neg_hi:[0,1]
	v_accvgpr_write_b32 a39, v245
	v_pk_mul_f32 v[244:245], v[178:179], s[14:15]
	v_pk_add_f32 v[50:51], v[78:79], v[50:51]
	v_pk_add_f32 v[52:53], v[210:211], v[52:53]
	v_mov_b32_e32 v215, v55
	v_pk_add_f32 v[54:55], v[218:219], v[242:243] neg_lo:[0,1] neg_hi:[0,1]
	v_accvgpr_write_b32 a40, v246
	v_pk_mul_f32 v[246:247], v[180:181], s[22:23]
	v_pk_add_f32 v[50:51], v[68:69], v[50:51]
	v_pk_add_f32 v[52:53], v[214:215], v[52:53]
	v_mov_b32_e32 v221, v55
	v_pk_add_f32 v[54:55], v[222:223], v[244:245] neg_lo:[0,1] neg_hi:[0,1]
	v_mov_b32_e32 v0, v248
	v_accvgpr_write_b32 a41, v249
	v_pk_mul_f32 v[248:249], v[182:183], s[18:19]
	v_pk_add_f32 v[50:51], v[70:71], v[50:51]
	v_pk_add_f32 v[52:53], v[220:221], v[52:53]
	v_mov_b32_e32 v225, v55
	v_pk_add_f32 v[54:55], v[226:227], v[246:247] neg_lo:[0,1] neg_hi:[0,1]
	v_pk_add_f32 v[50:51], v[72:73], v[50:51]
	v_pk_add_f32 v[52:53], v[224:225], v[52:53]
	v_mov_b32_e32 v229, v55
	v_pk_add_f32 v[54:55], v[230:231], v[248:249] neg_lo:[0,1] neg_hi:[0,1]
	v_pk_add_f32 v[50:51], v[74:75], v[50:51]
	v_pk_add_f32 v[52:53], v[228:229], v[52:53]
	v_mov_b32_e32 v233, v55
	s_mov_b32 s26, s57
	v_accvgpr_write_b32 a42, v250
	v_pk_mul_f32 v[250:251], v[186:187], s[56:57] op_sel_hi:[1,0]
	v_lshlrev_b32_e32 v31, 3, v235
	v_pk_add_f32 v[50:51], v[134:135], v[50:51]
	v_pk_add_f32 v[52:53], v[232:233], v[52:53]
	ds_write2_b64 v31, v[50:51], v[52:53] offset1:1
	v_pk_fma_f32 v[50:51], v[184:185], s[26:27], v[250:251] op_sel:[0,0,1] op_sel_hi:[1,0,0]
	v_pk_fma_f32 v[52:53], v[184:185], s[26:27], v[250:251] op_sel:[0,0,1] op_sel_hi:[1,0,0] neg_lo:[0,0,1] neg_hi:[0,0,1]
	v_pk_mul_f32 v[58:59], v[188:189], s[52:53]
	v_accvgpr_write_b32 a43, v51
	v_mov_b32_e32 v51, v53
	v_pk_fma_f32 v[56:57], v[170:171], s[10:11], v[58:59]
	v_pk_fma_f32 v[54:55], v[170:171], s[10:11], v[58:59] neg_lo:[1,0,0] neg_hi:[1,0,0]
	v_accvgpr_write_b32 a54, v58
	v_pk_add_f32 v[50:51], v[48:49], v[50:51]
	v_accvgpr_write_b32 a55, v59
	v_mov_b32_e32 v54, v56
	v_pk_mul_f32 v[58:59], v[190:191], s[46:47]
	v_accvgpr_write_b32 a47, v57
	v_pk_add_f32 v[50:51], v[54:55], v[50:51]
	v_pk_fma_f32 v[56:57], v[172:173], s[14:15], v[58:59]
	v_pk_fma_f32 v[54:55], v[172:173], s[14:15], v[58:59] neg_lo:[1,0,0] neg_hi:[1,0,0]
	v_accvgpr_write_b32 a56, v58
	v_accvgpr_write_b32 a57, v59
	v_mov_b32_e32 v54, v56
	v_pk_mul_f32 v[58:59], v[192:193], s[50:51]
	s_mov_b32 s27, 0x3f06c442
	v_accvgpr_write_b32 a49, v57
	v_pk_add_f32 v[50:51], v[54:55], v[50:51]
	v_pk_fma_f32 v[56:57], v[174:175], s[18:19], v[58:59]
	v_pk_fma_f32 v[54:55], v[174:175], s[18:19], v[58:59] neg_lo:[1,0,0] neg_hi:[1,0,0]
	v_accvgpr_write_b32 a58, v58
	s_mov_b32 s68, s27
	s_mov_b32 s69, s49
	v_accvgpr_write_b32 a59, v59
	v_mov_b32_e32 v54, v56
	s_mov_b32 s26, s49
	v_pk_mul_f32 v[58:59], v[194:195], s[68:69]
	s_mov_b32 s29, 0x3f763a35
	v_accvgpr_write_b32 a51, v57
	v_pk_add_f32 v[50:51], v[54:55], v[50:51]
	v_pk_fma_f32 v[56:57], v[176:177], s[26:27], v[58:59]
	v_pk_fma_f32 v[54:55], v[176:177], s[26:27], v[58:59] neg_lo:[1,0,0] neg_hi:[1,0,0]
	v_accvgpr_write_b32 a63, v59
	s_mov_b32 s66, s29
	s_mov_b32 s67, s43
	v_accvgpr_write_b32 a62, v58
	v_mov_b32_e32 v54, v56
	s_mov_b32 s28, s43
	;; [unrolled: 12-line block ×4, first 2 shown]
	v_pk_mul_f32 v[58:59], v[200:201], s[62:63]
	v_accvgpr_write_b32 a69, v57
	v_pk_add_f32 v[50:51], v[54:55], v[50:51]
	v_pk_fma_f32 v[56:57], v[182:183], s[36:37], v[58:59]
	v_pk_fma_f32 v[54:55], v[182:183], s[36:37], v[58:59] neg_lo:[1,0,0] neg_hi:[1,0,0]
	s_mov_b32 s54, s59
	v_mov_b32_e32 v54, v56
	v_pk_add_f32 v[50:51], v[54:55], v[50:51]
	v_pk_mul_f32 v[54:55], v[186:187], s[58:59] op_sel_hi:[1,0]
	v_accvgpr_write_b32 a73, v57
	v_pk_mul_f32 v[210:211], v[188:189], s[46:47]
	s_mov_b32 s41, 0x3e3c28d5
	v_pk_fma_f32 v[56:57], v[184:185], s[54:55], v[54:55] op_sel:[0,0,1] op_sel_hi:[1,0,0]
	v_pk_fma_f32 v[218:219], v[184:185], s[54:55], v[54:55] op_sel:[0,0,1] op_sel_hi:[1,0,0] neg_lo:[0,0,1] neg_hi:[0,0,1]
	s_mov_b32 s38, s41
	s_mov_b32 s39, s51
	v_mov_b32_e32 v54, v56
	v_accvgpr_write_b32 a77, v57
	v_mov_b32_e32 v55, v219
	v_pk_fma_f32 v[64:65], v[170:171], s[14:15], v[210:211]
	v_pk_fma_f32 v[56:57], v[170:171], s[14:15], v[210:211] neg_lo:[1,0,0] neg_hi:[1,0,0]
	s_mov_b32 s40, s51
	v_pk_mul_f32 v[214:215], v[190:191], s[38:39]
	v_pk_add_f32 v[54:55], v[48:49], v[54:55]
	v_mov_b32_e32 v56, v64
	v_accvgpr_write_b32 a79, v65
	v_pk_add_f32 v[54:55], v[56:57], v[54:55]
	v_pk_fma_f32 v[64:65], v[172:173], s[40:41], v[214:215]
	v_pk_fma_f32 v[56:57], v[172:173], s[40:41], v[214:215] neg_lo:[1,0,0] neg_hi:[1,0,0]
	v_pk_mul_f32 v[208:209], v[192:193], s[66:67]
	s_mov_b32 s39, 0x3f2c7751
	v_mov_b32_e32 v56, v64
	s_mov_b32 s64, s39
	s_mov_b32 s65, s57
	v_accvgpr_write_b32 a81, v65
	v_pk_add_f32 v[54:55], v[56:57], v[54:55]
	v_pk_fma_f32 v[64:65], v[174:175], s[28:29], v[208:209]
	v_pk_fma_f32 v[56:57], v[174:175], s[28:29], v[208:209] neg_lo:[1,0,0] neg_hi:[1,0,0]
	s_mov_b32 s38, s57
	v_pk_mul_f32 v[212:213], v[194:195], s[64:65]
	v_mov_b32_e32 v56, v64
	v_accvgpr_write_b32 a83, v65
	v_pk_add_f32 v[54:55], v[56:57], v[54:55]
	v_pk_fma_f32 v[64:65], v[176:177], s[38:39], v[212:213]
	v_pk_fma_f32 v[56:57], v[176:177], s[38:39], v[212:213] neg_lo:[1,0,0] neg_hi:[1,0,0]
	v_pk_mul_f32 v[62:63], v[196:197], s[44:45]
	v_mov_b32_e32 v56, v64
	v_accvgpr_write_b32 a85, v65
	v_pk_add_f32 v[54:55], v[56:57], v[54:55]
	v_pk_fma_f32 v[64:65], v[178:179], s[2:3], v[62:63]
	v_pk_fma_f32 v[56:57], v[178:179], s[2:3], v[62:63] neg_lo:[1,0,0] neg_hi:[1,0,0]
	v_pk_mul_f32 v[60:61], v[198:199], s[52:53]
	v_accvgpr_write_b32 a93, v63
	v_mov_b32_e32 v56, v64
	v_accvgpr_write_b32 a75, v59
	v_accvgpr_write_b32 a92, v62
	v_pk_add_f32 v[54:55], v[56:57], v[54:55]
	v_pk_fma_f32 v[62:63], v[180:181], s[10:11], v[60:61]
	v_pk_fma_f32 v[56:57], v[180:181], s[10:11], v[60:61] neg_lo:[1,0,0] neg_hi:[1,0,0]
	v_accvgpr_write_b32 a74, v58
	v_pk_mul_f32 v[58:59], v[200:201], s[48:49]
	v_accvgpr_write_b32 a95, v61
	v_mov_b32_e32 v56, v62
	v_accvgpr_write_b32 a94, v60
	v_pk_add_f32 v[54:55], v[56:57], v[54:55]
	v_pk_fma_f32 v[60:61], v[182:183], s[22:23], v[58:59]
	v_pk_fma_f32 v[56:57], v[182:183], s[22:23], v[58:59] neg_lo:[1,0,0] neg_hi:[1,0,0]
	s_mov_b32 s72, s53
	v_mov_b32_e32 v56, v60
	v_pk_add_f32 v[54:55], v[56:57], v[54:55]
	ds_write2_b64 v31, v[50:51], v[54:55] offset0:2 offset1:3
	v_pk_mul_f32 v[50:51], v[186:187], s[52:53] op_sel_hi:[1,0]
	v_pk_mul_f32 v[246:247], v[188:189], s[50:51]
	v_pk_fma_f32 v[54:55], v[184:185], s[72:73], v[50:51] op_sel:[0,0,1] op_sel_hi:[1,0,0]
	v_pk_fma_f32 v[250:251], v[184:185], s[72:73], v[50:51] op_sel:[0,0,1] op_sel_hi:[1,0,0] neg_lo:[0,0,1] neg_hi:[0,0,1]
	v_mov_b32_e32 v50, v54
	v_accvgpr_write_b32 a99, v55
	v_mov_b32_e32 v51, v251
	v_pk_fma_f32 v[56:57], v[170:171], s[18:19], v[246:247]
	v_pk_fma_f32 v[54:55], v[170:171], s[18:19], v[246:247] neg_lo:[1,0,0] neg_hi:[1,0,0]
	v_pk_mul_f32 v[244:245], v[190:191], s[66:67]
	v_pk_add_f32 v[50:51], v[48:49], v[50:51]
	v_mov_b32_e32 v54, v56
	v_accvgpr_write_b32 a101, v57
	v_pk_add_f32 v[50:51], v[54:55], v[50:51]
	v_pk_fma_f32 v[56:57], v[172:173], s[28:29], v[244:245]
	v_pk_fma_f32 v[54:55], v[172:173], s[28:29], v[244:245] neg_lo:[1,0,0] neg_hi:[1,0,0]
	v_pk_mul_f32 v[242:243], v[192:193], s[62:63]
	v_mov_b32_e32 v54, v56
	v_accvgpr_write_b32 a103, v57
	v_pk_add_f32 v[50:51], v[54:55], v[50:51]
	v_pk_fma_f32 v[56:57], v[174:175], s[36:37], v[242:243]
	v_pk_fma_f32 v[54:55], v[174:175], s[36:37], v[242:243] neg_lo:[1,0,0] neg_hi:[1,0,0]
	v_pk_mul_f32 v[240:241], v[194:195], s[58:59]
	;; [unrolled: 6-line block ×3, first 2 shown]
	s_mov_b32 s55, 0x3f4c4adb
	v_mov_b32_e32 v54, v56
	s_mov_b32 s70, s55
	s_mov_b32 s71, s47
	v_accvgpr_write_b32 a107, v57
	v_pk_add_f32 v[50:51], v[54:55], v[50:51]
	v_pk_fma_f32 v[56:57], v[178:179], s[22:23], v[236:237]
	v_pk_fma_f32 v[54:55], v[178:179], s[22:23], v[236:237] neg_lo:[1,0,0] neg_hi:[1,0,0]
	s_mov_b32 s54, s47
	v_pk_mul_f32 v[238:239], v[198:199], s[70:71]
	v_mov_b32_e32 v54, v56
	v_accvgpr_write_b32 a109, v57
	v_pk_add_f32 v[50:51], v[54:55], v[50:51]
	v_pk_fma_f32 v[56:57], v[180:181], s[54:55], v[238:239]
	v_pk_fma_f32 v[54:55], v[180:181], s[54:55], v[238:239] neg_lo:[1,0,0] neg_hi:[1,0,0]
	v_pk_mul_f32 v[206:207], v[200:201], s[64:65]
	v_mov_b32_e32 v54, v56
	v_accvgpr_write_b32 a111, v57
	v_pk_add_f32 v[50:51], v[54:55], v[50:51]
	v_pk_fma_f32 v[56:57], v[182:183], s[38:39], v[206:207]
	v_pk_fma_f32 v[54:55], v[182:183], s[38:39], v[206:207] neg_lo:[1,0,0] neg_hi:[1,0,0]
	v_mov_b32_e32 v83, v120
	v_mov_b32_e32 v54, v56
	;; [unrolled: 1-line block ×3, first 2 shown]
	v_pk_add_f32 v[120:121], v[54:55], v[50:51]
	s_mov_b32 s72, s43
	v_pk_mul_f32 v[54:55], v[186:187], s[42:43] op_sel_hi:[1,0]
	v_pk_mul_f32 v[226:227], v[188:189], s[68:69]
	v_pk_fma_f32 v[134:135], v[184:185], s[72:73], v[54:55] op_sel:[0,0,1] op_sel_hi:[1,0,0]
	v_pk_fma_f32 v[54:55], v[184:185], s[72:73], v[54:55] op_sel:[0,0,1] op_sel_hi:[1,0,0] neg_lo:[0,0,1] neg_hi:[0,0,1]
	v_mov_b32_e32 v202, v134
	v_mov_b32_e32 v203, v55
	v_pk_fma_f32 v[228:229], v[170:171], s[26:27], v[226:227]
	v_pk_fma_f32 v[230:231], v[170:171], s[26:27], v[226:227] neg_lo:[1,0,0] neg_hi:[1,0,0]
	v_pk_mul_f32 v[224:225], v[190:191], s[64:65]
	v_pk_add_f32 v[202:203], v[48:49], v[202:203]
	v_mov_b32_e32 v230, v228
	v_pk_add_f32 v[202:203], v[230:231], v[202:203]
	v_pk_fma_f32 v[230:231], v[172:173], s[38:39], v[224:225]
	v_pk_fma_f32 v[232:233], v[172:173], s[38:39], v[224:225] neg_lo:[1,0,0] neg_hi:[1,0,0]
	v_pk_mul_f32 v[222:223], v[192:193], s[58:59]
	v_mov_b32_e32 v232, v230
	v_pk_add_f32 v[202:203], v[232:233], v[202:203]
	v_pk_fma_f32 v[232:233], v[174:175], s[20:21], v[222:223]
	v_pk_fma_f32 v[248:249], v[174:175], s[20:21], v[222:223] neg_lo:[1,0,0] neg_hi:[1,0,0]
	v_pk_mul_f32 v[216:217], v[194:195], s[50:51]
	s_mov_b32 s59, 0x3f7ee86f
	v_mov_b32_e32 v248, v232
	v_accvgpr_write_b32 a44, v252
	s_mov_b32 s68, s59
	s_mov_b32 s69, s53
	v_pk_add_f32 v[202:203], v[248:249], v[202:203]
	v_pk_fma_f32 v[248:249], v[176:177], s[18:19], v[216:217]
	v_accvgpr_write_b32 a45, v253
	v_pk_fma_f32 v[252:253], v[176:177], s[18:19], v[216:217] neg_lo:[1,0,0] neg_hi:[1,0,0]
	s_mov_b32 s58, s53
	v_pk_mul_f32 v[220:221], v[196:197], s[68:69]
	v_mov_b32_e32 v252, v248
	v_pk_add_f32 v[202:203], v[252:253], v[202:203]
	v_pk_fma_f32 v[252:253], v[178:179], s[58:59], v[220:221]
	v_mov_b32_e32 v228, v254
	v_mov_b32_e32 v230, v255
	v_pk_fma_f32 v[254:255], v[178:179], s[58:59], v[220:221] neg_lo:[1,0,0] neg_hi:[1,0,0]
	v_pk_mul_f32 v[84:85], v[198:199], s[44:45]
	v_mov_b32_e32 v254, v252
	v_pk_add_f32 v[202:203], v[254:255], v[202:203]
	v_pk_fma_f32 v[130:131], v[180:181], s[2:3], v[84:85]
	v_pk_fma_f32 v[254:255], v[180:181], s[2:3], v[84:85] neg_lo:[1,0,0] neg_hi:[1,0,0]
	v_pk_mul_f32 v[76:77], v[200:201], s[46:47]
	v_mov_b32_e32 v254, v130
	v_pk_add_f32 v[254:255], v[254:255], v[202:203]
	v_pk_fma_f32 v[78:79], v[182:183], s[14:15], v[76:77]
	v_pk_fma_f32 v[202:203], v[182:183], s[14:15], v[76:77] neg_lo:[1,0,0] neg_hi:[1,0,0]
	s_mov_b32 s72, s47
	v_mov_b32_e32 v202, v78
	v_pk_add_f32 v[202:203], v[202:203], v[254:255]
	ds_write2_b64 v31, v[120:121], v[202:203] offset0:4 offset1:5
	v_pk_mul_f32 v[120:121], v[186:187], s[46:47] op_sel_hi:[1,0]
	v_pk_mul_f32 v[202:203], v[188:189], s[66:67]
	v_pk_fma_f32 v[74:75], v[184:185], s[72:73], v[120:121] op_sel:[0,0,1] op_sel_hi:[1,0,0]
	v_pk_fma_f32 v[120:121], v[184:185], s[72:73], v[120:121] op_sel:[0,0,1] op_sel_hi:[1,0,0] neg_lo:[0,0,1] neg_hi:[0,0,1]
	v_accvgpr_write_b32 a52, v136
	v_mov_b32_e32 v50, v74
	v_mov_b32_e32 v51, v121
	v_accvgpr_write_b32 a53, v137
	v_pk_fma_f32 v[136:137], v[170:171], s[28:29], v[202:203]
	v_mov_b32_e32 v74, v132
	v_pk_fma_f32 v[132:133], v[170:171], s[28:29], v[202:203] neg_lo:[1,0,0] neg_hi:[1,0,0]
	v_pk_mul_f32 v[254:255], v[190:191], s[44:45]
	v_pk_add_f32 v[50:51], v[48:49], v[50:51]
	v_mov_b32_e32 v132, v136
	v_pk_add_f32 v[50:51], v[132:133], v[50:51]
	v_pk_fma_f32 v[72:73], v[172:173], s[2:3], v[254:255]
	v_pk_fma_f32 v[132:133], v[172:173], s[2:3], v[254:255] neg_lo:[1,0,0] neg_hi:[1,0,0]
	v_mov_b32_e32 v78, v122
	v_mov_b32_e32 v130, v123
	v_pk_mul_f32 v[122:123], v[192:193], s[48:49]
	v_mov_b32_e32 v132, v72
	v_pk_add_f32 v[50:51], v[132:133], v[50:51]
	v_pk_fma_f32 v[70:71], v[174:175], s[22:23], v[122:123]
	v_pk_fma_f32 v[132:133], v[174:175], s[22:23], v[122:123] neg_lo:[1,0,0] neg_hi:[1,0,0]
	v_mov_b32_e32 v134, v234
	v_pk_mul_f32 v[234:235], v[194:195], s[68:69]
	v_mov_b32_e32 v132, v70
	v_pk_add_f32 v[50:51], v[132:133], v[50:51]
	v_pk_fma_f32 v[68:69], v[176:177], s[58:59], v[234:235]
	v_pk_fma_f32 v[132:133], v[176:177], s[58:59], v[234:235] neg_lo:[1,0,0] neg_hi:[1,0,0]
	v_accvgpr_write_b32 a113, v57
	v_pk_mul_f32 v[56:57], v[196:197], s[56:57]
	v_mov_b32_e32 v132, v68
	v_accvgpr_write_b32 a97, v59
	v_pk_add_f32 v[50:51], v[132:133], v[50:51]
	v_pk_fma_f32 v[66:67], v[178:179], s[24:25], v[56:57]
	v_pk_fma_f32 v[132:133], v[178:179], s[24:25], v[56:57] neg_lo:[1,0,0] neg_hi:[1,0,0]
	v_accvgpr_write_b32 a96, v58
	v_pk_mul_f32 v[58:59], v[198:199], s[50:51]
	v_mov_b32_e32 v132, v66
	v_accvgpr_write_b32 a87, v65
	;; [unrolled: 7-line block ×3, first 2 shown]
	v_pk_add_f32 v[50:51], v[132:133], v[50:51]
	v_pk_fma_f32 v[62:63], v[182:183], s[34:35], v[60:61]
	v_pk_fma_f32 v[132:133], v[182:183], s[34:35], v[60:61] neg_lo:[1,0,0] neg_hi:[1,0,0]
	s_mov_b32 s56, s49
	v_mov_b32_e32 v132, v62
	v_pk_add_f32 v[50:51], v[132:133], v[50:51]
	v_pk_mul_f32 v[132:133], v[186:187], s[48:49] op_sel_hi:[1,0]
	v_accvgpr_write_b32 a26, v124
	v_mov_b32_e32 v248, v0
	v_accvgpr_write_b32 a27, v125
	v_pk_mul_f32 v[124:125], v[188:189], s[60:61]
	v_mov_b32_e32 v0, v98
	v_mov_b32_e32 v64, v99
	v_pk_fma_f32 v[98:99], v[184:185], s[56:57], v[132:133] op_sel:[0,0,1] op_sel_hi:[1,0,0]
	v_pk_fma_f32 v[132:133], v[184:185], s[56:57], v[132:133] op_sel:[0,0,1] op_sel_hi:[1,0,0] neg_lo:[0,0,1] neg_hi:[0,0,1]
	v_accvgpr_write_b32 a10, v102
	v_accvgpr_write_b32 a2, v100
	;; [unrolled: 1-line block ×3, first 2 shown]
	v_mov_b32_e32 v55, v96
	v_mov_b32_e32 v96, v98
	;; [unrolled: 1-line block ×4, first 2 shown]
	v_accvgpr_write_b32 a11, v103
	v_pk_fma_f32 v[102:103], v[170:171], s[34:35], v[124:125]
	v_accvgpr_write_b32 a3, v101
	v_pk_fma_f32 v[100:101], v[170:171], s[34:35], v[124:125] neg_lo:[1,0,0] neg_hi:[1,0,0]
	v_accvgpr_write_b32 a7, v81
	v_pk_mul_f32 v[80:81], v[190:191], s[52:53]
	v_pk_add_f32 v[96:97], v[48:49], v[96:97]
	v_mov_b32_e32 v100, v102
	v_accvgpr_write_b32 a14, v104
	v_accvgpr_write_b32 a4, v86
	v_pk_add_f32 v[96:97], v[100:101], v[96:97]
	v_accvgpr_write_b32 a15, v105
	v_pk_fma_f32 v[104:105], v[172:173], s[10:11], v[80:81]
	v_pk_fma_f32 v[100:101], v[172:173], s[10:11], v[80:81] neg_lo:[1,0,0] neg_hi:[1,0,0]
	v_accvgpr_write_b32 a5, v87
	v_pk_mul_f32 v[86:87], v[192:193], s[70:71]
	v_mov_b32_e32 v100, v104
	v_accvgpr_write_b32 a16, v106
	v_accvgpr_write_b32 a8, v88
	v_pk_add_f32 v[96:97], v[100:101], v[96:97]
	v_accvgpr_write_b32 a17, v107
	v_pk_fma_f32 v[106:107], v[174:175], s[54:55], v[86:87]
	v_pk_fma_f32 v[100:101], v[174:175], s[54:55], v[86:87] neg_lo:[1,0,0] neg_hi:[1,0,0]
	v_accvgpr_write_b32 a9, v89
	v_pk_mul_f32 v[88:89], v[194:195], s[44:45]
	v_mov_b32_e32 v100, v106
	v_accvgpr_write_b32 a18, v108
	v_accvgpr_write_b32 a12, v90
	v_pk_add_f32 v[96:97], v[100:101], v[96:97]
	v_accvgpr_write_b32 a19, v109
	v_accvgpr_write_b32 a20, v110
	;; [unrolled: 1-line block ×3, first 2 shown]
	v_pk_fma_f32 v[108:109], v[176:177], s[2:3], v[88:89]
	v_pk_fma_f32 v[100:101], v[176:177], s[2:3], v[88:89] neg_lo:[1,0,0] neg_hi:[1,0,0]
	v_accvgpr_write_b32 a13, v91
	v_pk_mul_f32 v[90:91], v[196:197], s[50:51]
	v_mov_b32_e32 v100, v108
	v_pk_add_f32 v[96:97], v[100:101], v[96:97]
	v_pk_fma_f32 v[110:111], v[178:179], s[18:19], v[90:91]
	v_pk_fma_f32 v[100:101], v[178:179], s[18:19], v[90:91] neg_lo:[1,0,0] neg_hi:[1,0,0]
	v_mov_b32_e32 v39, v92
	v_mov_b32_e32 v41, v93
	v_pk_mul_f32 v[92:93], v[198:199], s[64:65]
	v_mov_b32_e32 v100, v110
	v_accvgpr_write_b32 a22, v112
	v_pk_add_f32 v[96:97], v[100:101], v[96:97]
	v_accvgpr_write_b32 a23, v113
	v_pk_fma_f32 v[112:113], v[180:181], s[38:39], v[92:93]
	v_pk_fma_f32 v[100:101], v[180:181], s[38:39], v[92:93] neg_lo:[1,0,0] neg_hi:[1,0,0]
	v_mov_b32_e32 v43, v94
	v_mov_b32_e32 v53, v95
	v_pk_mul_f32 v[94:95], v[200:201], s[42:43]
	v_mov_b32_e32 v100, v112
	v_accvgpr_write_b32 a24, v114
	v_pk_add_f32 v[96:97], v[100:101], v[96:97]
	v_accvgpr_write_b32 a25, v115
	v_pk_fma_f32 v[114:115], v[182:183], s[30:31], v[94:95]
	v_pk_fma_f32 v[100:101], v[182:183], s[30:31], v[94:95] neg_lo:[1,0,0] neg_hi:[1,0,0]
	s_mov_b32 s44, s51
	v_mov_b32_e32 v100, v114
	v_pk_add_f32 v[96:97], v[100:101], v[96:97]
	ds_write2_b64 v31, v[50:51], v[96:97] offset0:6 offset1:7
	v_pk_mul_f32 v[50:51], v[186:187], s[50:51] op_sel_hi:[1,0]
	v_pk_mul_f32 v[96:97], v[188:189], s[62:63]
	v_pk_mul_f32 v[100:101], v[190:191], s[48:49]
	;; [unrolled: 1-line block ×3, first 2 shown]
	v_pk_fma_f32 v[196:197], v[184:185], s[44:45], v[50:51] op_sel:[0,0,1] op_sel_hi:[1,0,0]
	v_pk_fma_f32 v[50:51], v[184:185], s[44:45], v[50:51] op_sel:[0,0,1] op_sel_hi:[1,0,0] neg_lo:[0,0,1] neg_hi:[0,0,1]
	v_pk_mul_f32 v[186:187], v[192:193], s[64:65]
	v_pk_mul_f32 v[188:189], v[194:195], s[46:47]
	;; [unrolled: 1-line block ×4, first 2 shown]
	v_mov_b32_e32 v184, v196
	v_mov_b32_e32 v185, v51
	v_pk_fma_f32 v[198:199], v[170:171], s[36:37], v[96:97]
	v_pk_fma_f32 v[200:201], v[170:171], s[36:37], v[96:97] neg_lo:[1,0,0] neg_hi:[1,0,0]
	v_pk_add_f32 v[184:185], v[48:49], v[184:185]
	v_mov_b32_e32 v200, v198
	v_mov_b32_e32 v98, v0
	v_pk_add_f32 v[184:185], v[200:201], v[184:185]
	v_mov_b32_e32 v0, v116
	v_mov_b32_e32 v66, v117
	v_pk_fma_f32 v[116:117], v[172:173], s[22:23], v[100:101]
	v_pk_fma_f32 v[200:201], v[172:173], s[22:23], v[100:101] neg_lo:[1,0,0] neg_hi:[1,0,0]
	v_accvgpr_write_b32 a28, v126
	v_mov_b32_e32 v200, v116
	v_mov_b32_e32 v116, v0
	v_pk_add_f32 v[184:185], v[200:201], v[184:185]
	v_pk_fma_f32 v[0:1], v[174:175], s[38:39], v[186:187]
	v_pk_fma_f32 v[200:201], v[174:175], s[38:39], v[186:187] neg_lo:[1,0,0] neg_hi:[1,0,0]
	v_accvgpr_write_b32 a29, v127
	v_mov_b32_e32 v200, v0
	v_pk_add_f32 v[184:185], v[200:201], v[184:185]
	v_pk_fma_f32 v[126:127], v[176:177], s[14:15], v[188:189]
	v_pk_fma_f32 v[200:201], v[176:177], s[14:15], v[188:189] neg_lo:[1,0,0] neg_hi:[1,0,0]
	v_accvgpr_write_b32 a30, v128
	v_mov_b32_e32 v200, v126
	v_mov_b32_e32 v51, v197
	v_pk_fma_f32 v[96:97], v[170:171], s[36:37], v[96:97] neg_lo:[0,0,1] neg_hi:[0,0,1]
	v_accvgpr_write_b32 a31, v129
	v_pk_add_f32 v[128:129], v[200:201], v[184:185]
	v_pk_fma_f32 v[184:185], v[178:179], s[34:35], v[190:191]
	v_pk_fma_f32 v[200:201], v[178:179], s[34:35], v[190:191] neg_lo:[1,0,0] neg_hi:[1,0,0]
	v_pk_add_f32 v[50:51], v[48:49], v[50:51]
	v_mov_b32_e32 v97, v199
	v_mov_b32_e32 v200, v184
	v_pk_add_f32 v[50:51], v[96:97], v[50:51]
	v_pk_fma_f32 v[96:97], v[172:173], s[22:23], v[100:101] neg_lo:[0,0,1] neg_hi:[0,0,1]
	v_pk_add_f32 v[128:129], v[200:201], v[128:129]
	v_pk_fma_f32 v[138:139], v[180:181], s[30:31], v[192:193]
	v_pk_fma_f32 v[200:201], v[180:181], s[30:31], v[192:193] neg_lo:[1,0,0] neg_hi:[1,0,0]
	v_mov_b32_e32 v97, v117
	v_mov_b32_e32 v200, v138
	v_pk_add_f32 v[50:51], v[96:97], v[50:51]
	v_pk_fma_f32 v[96:97], v[174:175], s[38:39], v[186:187] neg_lo:[0,0,1] neg_hi:[0,0,1]
	v_pk_add_f32 v[128:129], v[200:201], v[128:129]
	v_mov_b32_e32 v0, v118
	v_mov_b32_e32 v68, v119
	v_pk_fma_f32 v[118:119], v[182:183], s[58:59], v[194:195]
	v_pk_fma_f32 v[200:201], v[182:183], s[58:59], v[194:195] neg_lo:[1,0,0] neg_hi:[1,0,0]
	v_mov_b32_e32 v97, v1
	v_mov_b32_e32 v200, v118
	;; [unrolled: 1-line block ×3, first 2 shown]
	v_pk_add_f32 v[0:1], v[96:97], v[50:51]
	v_pk_fma_f32 v[50:51], v[176:177], s[14:15], v[188:189] neg_lo:[0,0,1] neg_hi:[0,0,1]
	v_pk_add_f32 v[128:129], v[200:201], v[128:129]
	v_mov_b32_e32 v51, v127
	v_pk_add_f32 v[0:1], v[50:51], v[0:1]
	v_pk_fma_f32 v[50:51], v[178:179], s[34:35], v[190:191] neg_lo:[0,0,1] neg_hi:[0,0,1]
	v_mov_b32_e32 v133, v99
	v_mov_b32_e32 v51, v185
	v_pk_add_f32 v[0:1], v[50:51], v[0:1]
	v_pk_fma_f32 v[50:51], v[180:181], s[30:31], v[192:193] neg_lo:[0,0,1] neg_hi:[0,0,1]
	v_mov_b32_e32 v121, v75
	v_mov_b32_e32 v51, v139
	v_pk_add_f32 v[0:1], v[50:51], v[0:1]
	v_pk_fma_f32 v[50:51], v[182:183], s[58:59], v[194:195] neg_lo:[0,0,1] neg_hi:[0,0,1]
	v_pk_fma_f32 v[56:57], v[178:179], s[24:25], v[56:57] neg_lo:[0,0,1] neg_hi:[0,0,1]
	v_mov_b32_e32 v51, v119
	v_pk_add_f32 v[0:1], v[50:51], v[0:1]
	v_pk_fma_f32 v[50:51], v[170:171], s[34:35], v[124:125] neg_lo:[0,0,1] neg_hi:[0,0,1]
	ds_write2_b64 v31, v[128:129], v[0:1] offset0:8 offset1:9
	v_pk_add_f32 v[0:1], v[48:49], v[132:133]
	v_mov_b32_e32 v51, v103
	v_pk_add_f32 v[0:1], v[50:51], v[0:1]
	v_pk_fma_f32 v[50:51], v[172:173], s[10:11], v[80:81] neg_lo:[0,0,1] neg_hi:[0,0,1]
	v_mov_b32_e32 v132, v74
	v_mov_b32_e32 v51, v105
	v_pk_add_f32 v[0:1], v[50:51], v[0:1]
	v_pk_fma_f32 v[50:51], v[174:175], s[54:55], v[86:87] neg_lo:[0,0,1] neg_hi:[0,0,1]
	v_pk_fma_f32 v[74:75], v[170:171], s[28:29], v[202:203] neg_lo:[0,0,1] neg_hi:[0,0,1]
	v_mov_b32_e32 v51, v107
	v_pk_add_f32 v[0:1], v[50:51], v[0:1]
	v_pk_fma_f32 v[50:51], v[176:177], s[2:3], v[88:89] neg_lo:[0,0,1] neg_hi:[0,0,1]
	v_mov_b32_e32 v75, v137
	v_mov_b32_e32 v51, v109
	v_pk_add_f32 v[0:1], v[50:51], v[0:1]
	v_pk_fma_f32 v[50:51], v[178:179], s[18:19], v[90:91] neg_lo:[0,0,1] neg_hi:[0,0,1]
	v_mov_b32_e32 v57, v67
	;; [unrolled: 4-line block ×4, first 2 shown]
	v_mov_b32_e32 v51, v115
	v_pk_add_f32 v[0:1], v[50:51], v[0:1]
	v_pk_add_f32 v[50:51], v[48:49], v[120:121]
	v_accvgpr_read_b32 v251, a99
	v_pk_add_f32 v[50:51], v[74:75], v[50:51]
	v_pk_fma_f32 v[74:75], v[172:173], s[2:3], v[254:255] neg_lo:[0,0,1] neg_hi:[0,0,1]
	v_mov_b32_e32 v121, v219
	v_mov_b32_e32 v75, v73
	v_pk_fma_f32 v[72:73], v[174:175], s[22:23], v[122:123] neg_lo:[0,0,1] neg_hi:[0,0,1]
	v_pk_add_f32 v[50:51], v[74:75], v[50:51]
	v_mov_b32_e32 v73, v71
	v_pk_fma_f32 v[70:71], v[176:177], s[58:59], v[234:235] neg_lo:[0,0,1] neg_hi:[0,0,1]
	v_pk_add_f32 v[50:51], v[72:73], v[50:51]
	v_mov_b32_e32 v71, v69
	v_pk_add_f32 v[50:51], v[70:71], v[50:51]
	v_accvgpr_read_b32 v219, a77
	v_pk_add_f32 v[50:51], v[56:57], v[50:51]
	v_pk_fma_f32 v[56:57], v[180:181], s[18:19], v[58:59] neg_lo:[0,0,1] neg_hi:[0,0,1]
	v_mov_b32_e32 v95, v53
	v_mov_b32_e32 v57, v65
	v_pk_add_f32 v[50:51], v[56:57], v[50:51]
	v_pk_fma_f32 v[56:57], v[182:183], s[34:35], v[60:61] neg_lo:[0,0,1] neg_hi:[0,0,1]
	v_accvgpr_read_b32 v53, a43
	v_mov_b32_e32 v57, v63
	v_pk_add_f32 v[50:51], v[56:57], v[50:51]
	ds_write2_b64 v31, v[0:1], v[50:51] offset0:10 offset1:11
	v_pk_fma_f32 v[50:51], v[170:171], s[26:27], v[226:227] neg_lo:[0,0,1] neg_hi:[0,0,1]
	v_pk_add_f32 v[0:1], v[48:49], v[54:55]
	v_mov_b32_e32 v51, v229
	v_pk_add_f32 v[0:1], v[50:51], v[0:1]
	v_pk_fma_f32 v[50:51], v[172:173], s[38:39], v[224:225] neg_lo:[0,0,1] neg_hi:[0,0,1]
	v_pk_fma_f32 v[54:55], v[170:171], s[18:19], v[246:247] neg_lo:[0,0,1] neg_hi:[0,0,1]
	v_mov_b32_e32 v51, v231
	v_pk_add_f32 v[0:1], v[50:51], v[0:1]
	v_pk_fma_f32 v[50:51], v[174:175], s[20:21], v[222:223] neg_lo:[0,0,1] neg_hi:[0,0,1]
	v_accvgpr_read_b32 v55, a101
	v_mov_b32_e32 v51, v233
	v_pk_add_f32 v[0:1], v[50:51], v[0:1]
	v_pk_fma_f32 v[50:51], v[176:177], s[18:19], v[216:217] neg_lo:[0,0,1] neg_hi:[0,0,1]
	v_accvgpr_read_b32 v101, a3
	v_mov_b32_e32 v51, v249
	v_pk_add_f32 v[0:1], v[50:51], v[0:1]
	v_pk_fma_f32 v[50:51], v[178:179], s[58:59], v[220:221] neg_lo:[0,0,1] neg_hi:[0,0,1]
	v_accvgpr_read_b32 v127, a29
	v_mov_b32_e32 v51, v253
	v_pk_add_f32 v[0:1], v[50:51], v[0:1]
	v_pk_fma_f32 v[50:51], v[180:181], s[2:3], v[84:85] neg_lo:[0,0,1] neg_hi:[0,0,1]
	v_accvgpr_read_b32 v129, a31
	v_mov_b32_e32 v51, v131
	v_pk_add_f32 v[0:1], v[50:51], v[0:1]
	v_pk_fma_f32 v[50:51], v[182:183], s[14:15], v[76:77] neg_lo:[0,0,1] neg_hi:[0,0,1]
	v_accvgpr_read_b32 v125, a27
	v_mov_b32_e32 v51, v79
	v_pk_add_f32 v[0:1], v[50:51], v[0:1]
	v_pk_add_f32 v[50:51], v[48:49], v[250:251]
	v_accvgpr_read_b32 v103, a11
	v_pk_add_f32 v[50:51], v[54:55], v[50:51]
	v_pk_fma_f32 v[54:55], v[172:173], s[28:29], v[244:245] neg_lo:[0,0,1] neg_hi:[0,0,1]
	v_accvgpr_read_b32 v81, a7
	v_accvgpr_read_b32 v55, a103
	v_pk_add_f32 v[50:51], v[54:55], v[50:51]
	v_pk_fma_f32 v[54:55], v[174:175], s[36:37], v[242:243] neg_lo:[0,0,1] neg_hi:[0,0,1]
	v_accvgpr_read_b32 v105, a15
	v_accvgpr_read_b32 v55, a105
	v_pk_add_f32 v[50:51], v[54:55], v[50:51]
	v_pk_fma_f32 v[54:55], v[176:177], s[20:21], v[240:241] neg_lo:[0,0,1] neg_hi:[0,0,1]
	v_accvgpr_read_b32 v87, a5
	v_accvgpr_read_b32 v55, a107
	v_pk_add_f32 v[50:51], v[54:55], v[50:51]
	v_pk_fma_f32 v[54:55], v[178:179], s[22:23], v[236:237] neg_lo:[0,0,1] neg_hi:[0,0,1]
	v_accvgpr_read_b32 v107, a17
	v_accvgpr_read_b32 v55, a109
	v_pk_add_f32 v[50:51], v[54:55], v[50:51]
	v_pk_fma_f32 v[54:55], v[180:181], s[54:55], v[238:239] neg_lo:[0,0,1] neg_hi:[0,0,1]
	v_accvgpr_read_b32 v89, a9
	v_accvgpr_read_b32 v55, a111
	v_pk_add_f32 v[50:51], v[54:55], v[50:51]
	v_pk_fma_f32 v[54:55], v[182:183], s[38:39], v[206:207] neg_lo:[0,0,1] neg_hi:[0,0,1]
	v_accvgpr_read_b32 v91, a13
	v_accvgpr_read_b32 v55, a113
	v_pk_add_f32 v[50:51], v[54:55], v[50:51]
	ds_write2_b64 v31, v[0:1], v[50:51] offset0:12 offset1:13
	v_pk_fma_f32 v[50:51], v[170:171], s[14:15], v[210:211] neg_lo:[0,0,1] neg_hi:[0,0,1]
	v_pk_add_f32 v[0:1], v[48:49], v[218:219]
	v_accvgpr_read_b32 v51, a79
	v_pk_add_f32 v[0:1], v[50:51], v[0:1]
	v_pk_fma_f32 v[50:51], v[172:173], s[40:41], v[214:215] neg_lo:[0,0,1] neg_hi:[0,0,1]
	v_pk_add_f32 v[48:49], v[48:49], v[52:53]
	v_accvgpr_read_b32 v51, a81
	v_pk_add_f32 v[0:1], v[50:51], v[0:1]
	v_pk_fma_f32 v[50:51], v[174:175], s[28:29], v[208:209] neg_lo:[0,0,1] neg_hi:[0,0,1]
	v_accvgpr_read_b32 v111, a21
	v_accvgpr_read_b32 v51, a83
	v_pk_add_f32 v[0:1], v[50:51], v[0:1]
	v_pk_fma_f32 v[50:51], v[176:177], s[38:39], v[212:213] neg_lo:[0,0,1] neg_hi:[0,0,1]
	v_accvgpr_read_b32 v113, a23
	v_accvgpr_read_b32 v51, a85
	v_pk_add_f32 v[0:1], v[50:51], v[0:1]
	v_accvgpr_read_b32 v50, a92
	v_accvgpr_read_b32 v51, a93
	v_pk_fma_f32 v[50:51], v[178:179], s[2:3], v[50:51] neg_lo:[0,0,1] neg_hi:[0,0,1]
	v_accvgpr_read_b32 v115, a25
	v_accvgpr_read_b32 v51, a87
	v_pk_add_f32 v[0:1], v[50:51], v[0:1]
	v_accvgpr_read_b32 v50, a94
	v_accvgpr_read_b32 v51, a95
	;; [unrolled: 6-line block ×9, first 2 shown]
	v_pk_fma_f32 v[50:51], v[180:181], s[34:35], v[50:51] neg_lo:[0,0,1] neg_hi:[0,0,1]
	v_mov_b32_e32 v117, v66
	v_accvgpr_read_b32 v51, a69
	v_pk_add_f32 v[48:49], v[50:51], v[48:49]
	v_accvgpr_read_b32 v50, a74
	v_accvgpr_read_b32 v51, a75
	v_pk_fma_f32 v[50:51], v[182:183], s[36:37], v[50:51] neg_lo:[0,0,1] neg_hi:[0,0,1]
	v_mov_b32_e32 v97, v62
	v_accvgpr_read_b32 v51, a73
	v_accvgpr_read_b32 v126, a28
	v_mov_b32_e32 v119, v68
	v_accvgpr_read_b32 v128, a30
	v_mov_b32_e32 v99, v64
	v_accvgpr_read_b32 v124, a26
	v_accvgpr_read_b32 v102, a10
	;; [unrolled: 1-line block ×11, first 2 shown]
	v_mov_b32_e32 v93, v41
	v_mov_b32_e32 v92, v39
	v_accvgpr_read_b32 v112, a22
	v_mov_b32_e32 v94, v43
	v_accvgpr_read_b32 v114, a24
	;; [unrolled: 2-line block ×3, first 2 shown]
	v_mov_b32_e32 v255, v230
	v_mov_b32_e32 v254, v228
	v_mov_b32_e32 v123, v130
	v_mov_b32_e32 v122, v78
	v_mov_b32_e32 v234, v134
	v_accvgpr_read_b32 v249, a41
	v_accvgpr_read_b32 v252, a44
	;; [unrolled: 1-line block ×10, first 2 shown]
	v_pk_add_f32 v[48:49], v[50:51], v[48:49]
	ds_write2_b64 v31, v[0:1], v[48:49] offset0:14 offset1:15
	ds_write_b64 v31, a[52:53] offset:128
.LBB0_17:
	s_or_b64 exec, exec, s[16:17]
	v_add_u32_e32 v31, 0x2800, v205
	s_waitcnt lgkmcnt(0)
	s_barrier
	ds_read2_b64 v[48:51], v31 offset0:148 offset1:250
	v_add_u32_e32 v39, 0x1000, v205
	ds_read2_b64 v[52:55], v39 offset0:100 offset1:202
	v_add_u32_e32 v41, 0x2400, v205
	v_add_u32_e32 v43, 0x800, v205
	s_waitcnt lgkmcnt(1)
	v_pk_mul_f32 v[0:1], v[106:107], v[50:51]
	v_add_u32_e32 v83, 0x1c00, v205
	v_pk_fma_f32 v[56:57], v[164:165], v[50:51], v[0:1] op_sel:[0,0,1] op_sel_hi:[1,1,0]
	v_pk_fma_f32 v[0:1], v[164:165], v[50:51], v[0:1] op_sel:[0,0,1] op_sel_hi:[1,1,0] neg_lo:[0,0,1] neg_hi:[0,0,1]
	v_pk_mul_f32 v[50:51], v[90:91], v[48:49]
	v_mov_b32_e32 v57, v1
	s_waitcnt lgkmcnt(0)
	v_pk_add_f32 v[0:1], v[54:55], v[56:57] neg_lo:[0,1] neg_hi:[0,1]
	v_pk_fma_f32 v[56:57], v[162:163], v[48:49], v[50:51] op_sel:[0,0,1] op_sel_hi:[1,1,0]
	v_pk_fma_f32 v[58:59], v[162:163], v[48:49], v[50:51] op_sel:[0,0,1] op_sel_hi:[1,1,0] neg_lo:[0,0,1] neg_hi:[0,0,1]
	ds_read2_b64 v[48:51], v41 offset0:72 offset1:174
	v_mov_b32_e32 v57, v59
	v_pk_add_f32 v[68:69], v[52:53], v[56:57] neg_lo:[0,1] neg_hi:[0,1]
	ds_read2_b64 v[56:59], v43 offset0:152 offset1:254
	v_add_u32_e32 v90, 0x400, v205
	s_waitcnt lgkmcnt(1)
	v_pk_mul_f32 v[60:61], v[104:105], v[50:51]
	v_add_u32_e32 v91, 0x1800, v205
	v_pk_fma_f32 v[62:63], v[160:161], v[50:51], v[60:61] op_sel:[0,0,1] op_sel_hi:[1,1,0]
	v_pk_fma_f32 v[50:51], v[160:161], v[50:51], v[60:61] op_sel:[0,0,1] op_sel_hi:[1,1,0] neg_lo:[0,0,1] neg_hi:[0,0,1]
	v_mov_b32_e32 v174, v8
	v_mov_b32_e32 v63, v51
	v_pk_mul_f32 v[50:51], v[88:89], v[48:49]
	s_waitcnt lgkmcnt(0)
	v_pk_add_f32 v[70:71], v[58:59], v[62:63] neg_lo:[0,1] neg_hi:[0,1]
	v_pk_fma_f32 v[60:61], v[158:159], v[48:49], v[50:51] op_sel:[0,0,1] op_sel_hi:[1,1,0]
	v_pk_fma_f32 v[62:63], v[158:159], v[48:49], v[50:51] op_sel:[0,0,1] op_sel_hi:[1,1,0] neg_lo:[0,0,1] neg_hi:[0,0,1]
	ds_read2_b64 v[48:51], v83 offset0:124 offset1:226
	v_mov_b32_e32 v61, v63
	v_pk_add_f32 v[72:73], v[56:57], v[60:61] neg_lo:[0,1] neg_hi:[0,1]
	ds_read2_b64 v[60:63], v90 offset0:76 offset1:178
	v_mov_b32_e32 v175, v8
	s_waitcnt lgkmcnt(1)
	v_pk_mul_f32 v[64:65], v[102:103], v[50:51]
	v_mov_b32_e32 v8, v9
	v_pk_fma_f32 v[66:67], v[156:157], v[50:51], v[64:65] op_sel:[0,0,1] op_sel_hi:[1,1,0]
	v_pk_fma_f32 v[50:51], v[156:157], v[50:51], v[64:65] op_sel:[0,0,1] op_sel_hi:[1,1,0] neg_lo:[0,0,1] neg_hi:[0,0,1]
	v_mov_b32_e32 v172, v10
	v_mov_b32_e32 v67, v51
	s_waitcnt lgkmcnt(0)
	v_pk_add_f32 v[74:75], v[62:63], v[66:67] neg_lo:[0,1] neg_hi:[0,1]
	ds_read2_b64 v[64:67], v91 offset0:48 offset1:150
	v_pk_mul_f32 v[50:51], v[80:81], v[48:49]
	v_mov_b32_e32 v173, v10
	v_pk_fma_f32 v[80:81], v[154:155], v[48:49], v[50:51] op_sel:[0,0,1] op_sel_hi:[1,1,0]
	v_pk_fma_f32 v[48:49], v[154:155], v[48:49], v[50:51] op_sel:[0,0,1] op_sel_hi:[1,1,0] neg_lo:[0,0,1] neg_hi:[0,0,1]
	s_waitcnt lgkmcnt(0)
	v_pk_mul_f32 v[86:87], v[86:87], v[66:67]
	v_mov_b32_e32 v81, v49
	ds_read2_b64 v[48:51], v205 offset1:102
	v_pk_fma_f32 v[88:89], v[152:153], v[66:67], v[86:87] op_sel:[0,0,1] op_sel_hi:[1,1,0]
	v_pk_fma_f32 v[66:67], v[152:153], v[66:67], v[86:87] op_sel:[0,0,1] op_sel_hi:[1,1,0] neg_lo:[0,0,1] neg_hi:[0,0,1]
	v_pk_mul_f32 v[86:87], v[100:101], v[64:65]
	v_mov_b32_e32 v89, v67
	s_waitcnt lgkmcnt(0)
	v_pk_add_f32 v[66:67], v[50:51], v[88:89] neg_lo:[0,1] neg_hi:[0,1]
	v_pk_fma_f32 v[88:89], v[150:151], v[64:65], v[86:87] op_sel:[0,0,1] op_sel_hi:[1,1,0]
	v_pk_fma_f32 v[64:65], v[150:151], v[64:65], v[86:87] op_sel:[0,0,1] op_sel_hi:[1,1,0] neg_lo:[0,0,1] neg_hi:[0,0,1]
	v_pk_add_f32 v[80:81], v[60:61], v[80:81] neg_lo:[0,1] neg_hi:[0,1]
	v_mov_b32_e32 v89, v65
	v_pk_add_f32 v[64:65], v[48:49], v[88:89] neg_lo:[0,1] neg_hi:[0,1]
	v_pk_fma_f32 v[50:51], v[50:51], 2.0, v[66:67] op_sel_hi:[1,0,1] neg_lo:[0,0,1] neg_hi:[0,0,1]
	v_pk_fma_f32 v[48:49], v[48:49], 2.0, v[64:65] op_sel_hi:[1,0,1] neg_lo:[0,0,1] neg_hi:[0,0,1]
	s_barrier
	ds_write2_b64 v92, v[48:49], v[64:65] offset1:17
	ds_write2_b64 v93, v[50:51], v[66:67] offset1:17
	v_pk_fma_f32 v[48:49], v[60:61], 2.0, v[80:81] op_sel_hi:[1,0,1] neg_lo:[0,0,1] neg_hi:[0,0,1]
	ds_write2_b64 v94, v[48:49], v[80:81] offset1:17
	v_pk_fma_f32 v[48:49], v[62:63], 2.0, v[74:75] op_sel_hi:[1,0,1] neg_lo:[0,0,1] neg_hi:[0,0,1]
	;; [unrolled: 2-line block ×6, first 2 shown]
	ds_write2_b64 v99, v[48:49], v[0:1] offset1:17
	s_waitcnt lgkmcnt(0)
	s_barrier
	ds_read2_b64 v[48:51], v31 offset0:148 offset1:250
	ds_read2_b64 v[52:55], v39 offset0:100 offset1:202
	v_mov_b32_e32 v10, v11
	v_mov_b32_e32 v170, v4
	;; [unrolled: 1-line block ×3, first 2 shown]
	s_waitcnt lgkmcnt(1)
	v_pk_mul_f32 v[0:1], v[240:241], v[50:51]
	v_mov_b32_e32 v4, v5
	v_pk_fma_f32 v[56:57], v[148:149], v[50:51], v[0:1] op_sel:[0,0,1] op_sel_hi:[1,1,0]
	v_pk_fma_f32 v[0:1], v[148:149], v[50:51], v[0:1] op_sel:[0,0,1] op_sel_hi:[1,1,0] neg_lo:[0,0,1] neg_hi:[0,0,1]
	v_mov_b32_e32 v84, v6
	v_mov_b32_e32 v57, v1
	s_waitcnt lgkmcnt(0)
	v_pk_add_f32 v[86:87], v[54:55], v[56:57] neg_lo:[0,1] neg_hi:[0,1]
	v_pk_mul_f32 v[0:1], v[238:239], v[48:49]
	ds_read2_b64 v[56:59], v41 offset0:72 offset1:174
	v_pk_fma_f32 v[50:51], v[146:147], v[48:49], v[0:1] op_sel:[0,0,1] op_sel_hi:[1,1,0]
	v_pk_fma_f32 v[0:1], v[146:147], v[48:49], v[0:1] op_sel:[0,0,1] op_sel_hi:[1,1,0] neg_lo:[0,0,1] neg_hi:[0,0,1]
	v_mov_b32_e32 v85, v6
	v_mov_b32_e32 v51, v1
	v_pk_add_f32 v[0:1], v[52:53], v[50:51] neg_lo:[0,1] neg_hi:[0,1]
	ds_read2_b64 v[48:51], v43 offset0:152 offset1:254
	s_waitcnt lgkmcnt(1)
	v_pk_mul_f32 v[60:61], v[236:237], v[58:59]
	v_mov_b32_e32 v6, v7
	v_pk_fma_f32 v[62:63], v[144:145], v[58:59], v[60:61] op_sel:[0,0,1] op_sel_hi:[1,1,0]
	v_pk_fma_f32 v[58:59], v[144:145], v[58:59], v[60:61] op_sel:[0,0,1] op_sel_hi:[1,1,0] neg_lo:[0,0,1] neg_hi:[0,0,1]
	v_mov_b32_e32 v130, v16
	v_mov_b32_e32 v63, v59
	s_waitcnt lgkmcnt(0)
	v_pk_add_f32 v[70:71], v[50:51], v[62:63] neg_lo:[0,1] neg_hi:[0,1]
	v_pk_mul_f32 v[62:63], v[128:129], v[56:57]
	ds_read2_b64 v[58:61], v83 offset0:124 offset1:226
	v_pk_fma_f32 v[64:65], v[142:143], v[56:57], v[62:63] op_sel:[0,0,1] op_sel_hi:[1,1,0]
	v_pk_fma_f32 v[56:57], v[142:143], v[56:57], v[62:63] op_sel:[0,0,1] op_sel_hi:[1,1,0] neg_lo:[0,0,1] neg_hi:[0,0,1]
	v_mov_b32_e32 v131, v16
	v_mov_b32_e32 v65, v57
	v_pk_add_f32 v[72:73], v[48:49], v[64:65] neg_lo:[0,1] neg_hi:[0,1]
	ds_read2_b64 v[62:65], v90 offset0:76 offset1:178
	s_waitcnt lgkmcnt(1)
	v_pk_mul_f32 v[56:57], v[126:127], v[60:61]
	v_mov_b32_e32 v16, v17
	v_pk_fma_f32 v[66:67], v[140:141], v[60:61], v[56:57] op_sel:[0,0,1] op_sel_hi:[1,1,0]
	v_pk_fma_f32 v[56:57], v[140:141], v[60:61], v[56:57] op_sel:[0,0,1] op_sel_hi:[1,1,0] neg_lo:[0,0,1] neg_hi:[0,0,1]
	v_mov_b32_e32 v78, v18
	v_mov_b32_e32 v67, v57
	s_waitcnt lgkmcnt(0)
	v_pk_add_f32 v[60:61], v[64:65], v[66:67] neg_lo:[0,1] neg_hi:[0,1]
	ds_read2_b64 v[66:69], v91 offset0:48 offset1:150
	v_pk_mul_f32 v[56:57], v[124:125], v[58:59]
	v_mov_b32_e32 v79, v18
	v_pk_fma_f32 v[74:75], v[2:3], v[58:59], v[56:57] op_sel:[0,0,1] op_sel_hi:[1,1,0]
	v_pk_fma_f32 v[2:3], v[2:3], v[58:59], v[56:57] op_sel:[0,0,1] op_sel_hi:[1,1,0] neg_lo:[0,0,1] neg_hi:[0,0,1]
	ds_read2_b64 v[56:59], v205 offset1:102
	v_mov_b32_e32 v75, v3
	v_pk_add_f32 v[2:3], v[62:63], v[74:75] neg_lo:[0,1] neg_hi:[0,1]
	s_waitcnt lgkmcnt(1)
	v_pk_mul_f32 v[74:75], v[114:115], v[68:69]
	s_waitcnt lgkmcnt(0)
	v_pk_fma_f32 v[80:81], v[168:169], v[68:69], v[74:75] op_sel:[0,0,1] op_sel_hi:[1,1,0]
	v_pk_fma_f32 v[68:69], v[168:169], v[68:69], v[74:75] op_sel:[0,0,1] op_sel_hi:[1,1,0] neg_lo:[0,0,1] neg_hi:[0,0,1]
	v_pk_mul_f32 v[74:75], v[112:113], v[66:67]
	v_mov_b32_e32 v81, v69
	v_pk_add_f32 v[68:69], v[58:59], v[80:81] neg_lo:[0,1] neg_hi:[0,1]
	v_pk_fma_f32 v[80:81], v[166:167], v[66:67], v[74:75] op_sel:[0,0,1] op_sel_hi:[1,1,0]
	v_pk_fma_f32 v[66:67], v[166:167], v[66:67], v[74:75] op_sel:[0,0,1] op_sel_hi:[1,1,0] neg_lo:[0,0,1] neg_hi:[0,0,1]
	v_pk_fma_f32 v[58:59], v[58:59], 2.0, v[68:69] op_sel_hi:[1,0,1] neg_lo:[0,0,1] neg_hi:[0,0,1]
	v_mov_b32_e32 v81, v67
	v_pk_add_f32 v[66:67], v[56:57], v[80:81] neg_lo:[0,1] neg_hi:[0,1]
	s_barrier
	v_pk_fma_f32 v[56:57], v[56:57], 2.0, v[66:67] op_sel_hi:[1,0,1] neg_lo:[0,0,1] neg_hi:[0,0,1]
	ds_write2_b64 v116, v[56:57], v[66:67] offset1:34
	ds_write2_b64 v117, v[58:59], v[68:69] offset1:34
	v_pk_fma_f32 v[56:57], v[62:63], 2.0, v[2:3] op_sel_hi:[1,0,1] neg_lo:[0,0,1] neg_hi:[0,0,1]
	ds_write2_b64 v118, v[56:57], v[2:3] offset1:34
	v_pk_fma_f32 v[2:3], v[64:65], 2.0, v[60:61] op_sel_hi:[1,0,1] neg_lo:[0,0,1] neg_hi:[0,0,1]
	;; [unrolled: 2-line block ×6, first 2 shown]
	ds_write2_b64 v123, v[0:1], v[86:87] offset1:34
	v_add_u32_e32 v0, 0xc00, v205
	s_waitcnt lgkmcnt(0)
	s_barrier
	ds_read2_b64 v[48:51], v0 offset0:24 offset1:160
	v_add_u32_e32 v0, 0x2000, v205
	ds_read2_b64 v[68:71], v205 offset1:102
	ds_read2_b64 v[72:75], v0 offset0:64 offset1:166
	ds_read2_b64 v[64:67], v39 offset0:134 offset1:236
	;; [unrolled: 1-line block ×5, first 2 shown]
	ds_read_b64 v[100:101], v205 offset:11968
	v_mov_b32_e32 v18, v19
	v_mov_b32_e32 v76, v20
	;; [unrolled: 1-line block ×13, first 2 shown]
	s_mov_b64 s[2:3], exec
	s_and_b64 s[10:11], s[2:3], s[0:1]
	v_accvgpr_read_b32 v80, a46
	s_mov_b64 exec, s[10:11]
	s_cbranch_execz .LBB0_19
; %bb.18:
	ds_read_b64 v[86:87], v205 offset:4080
	ds_read_b64 v[136:137], v205 offset:8432
	ds_read_b64 v[244:245], v205 offset:12784
.LBB0_19:
	s_or_b64 exec, exec, s[2:3]
	s_waitcnt lgkmcnt(7)
	v_pk_mul_f32 v[0:1], v[8:9], v[50:51]
	s_waitcnt lgkmcnt(5)
	v_pk_mul_f32 v[2:3], v[10:11], v[72:73]
	;; [unrolled: 2-line block ×4, first 2 shown]
	v_pk_fma_f32 v[20:21], v[174:175], v[50:51], v[0:1] op_sel:[0,0,1] op_sel_hi:[1,1,0]
	v_pk_fma_f32 v[0:1], v[174:175], v[50:51], v[0:1] op_sel:[0,0,1] op_sel_hi:[1,1,0] neg_lo:[0,0,1] neg_hi:[0,0,1]
	v_pk_mul_f32 v[10:11], v[18:19], v[60:61]
	v_mov_b32_e32 v21, v1
	v_pk_fma_f32 v[0:1], v[172:173], v[72:73], v[2:3] op_sel:[0,0,1] op_sel_hi:[1,1,0]
	v_pk_fma_f32 v[2:3], v[172:173], v[72:73], v[2:3] op_sel:[0,0,1] op_sel_hi:[1,1,0] neg_lo:[0,0,1] neg_hi:[0,0,1]
	v_pk_mul_f32 v[18:19], v[22:23], v[62:63]
	v_mov_b32_e32 v1, v3
	v_pk_add_f32 v[2:3], v[68:69], v[20:21]
	v_pk_add_f32 v[22:23], v[20:21], v[0:1]
	;; [unrolled: 1-line block ×3, first 2 shown]
	v_pk_add_f32 v[0:1], v[20:21], v[0:1] neg_lo:[0,1] neg_hi:[0,1]
	s_mov_b32 s2, 0x3f5db3d7
	v_pk_fma_f32 v[22:23], v[22:23], 0.5, v[68:69] op_sel_hi:[1,0,1] neg_lo:[1,0,0] neg_hi:[1,0,0]
	v_pk_mul_f32 v[0:1], v[0:1], s[2:3] op_sel_hi:[1,0]
	v_pk_mul_f32 v[4:5], v[4:5], v[64:65]
	v_pk_add_f32 v[20:21], v[22:23], v[0:1] op_sel:[0,1] op_sel_hi:[1,0] neg_lo:[0,1] neg_hi:[0,1]
	v_pk_add_f32 v[0:1], v[22:23], v[0:1] op_sel:[0,1] op_sel_hi:[1,0]
	v_mov_b32_e32 v22, v20
	v_mov_b32_e32 v23, v1
	;; [unrolled: 1-line block ×3, first 2 shown]
	v_pk_mul_f32 v[6:7], v[6:7], v[74:75]
	s_waitcnt lgkmcnt(0)
	s_barrier
	ds_write2_b64 v234, v[2:3], v[22:23] offset1:68
	ds_write_b64 v234, v[0:1] offset:1088
	v_pk_fma_f32 v[0:1], v[170:171], v[64:65], v[4:5] op_sel:[0,0,1] op_sel_hi:[1,1,0]
	v_pk_fma_f32 v[2:3], v[170:171], v[64:65], v[4:5] op_sel:[0,0,1] op_sel_hi:[1,1,0] neg_lo:[0,0,1] neg_hi:[0,0,1]
	v_pk_fma_f32 v[4:5], v[84:85], v[74:75], v[6:7] op_sel:[0,0,1] op_sel_hi:[1,1,0] neg_lo:[0,0,1] neg_hi:[0,0,1]
	v_mov_b32_e32 v1, v3
	v_pk_fma_f32 v[2:3], v[84:85], v[74:75], v[6:7] op_sel:[0,0,1] op_sel_hi:[1,1,0]
	v_pk_mul_f32 v[12:13], v[12:13], v[54:55]
	v_mov_b32_e32 v3, v5
	v_pk_add_f32 v[4:5], v[70:71], v[0:1]
	v_pk_add_f32 v[6:7], v[0:1], v[2:3]
	v_pk_add_f32 v[0:1], v[0:1], v[2:3] neg_lo:[0,1] neg_hi:[0,1]
	v_pk_fma_f32 v[6:7], v[6:7], 0.5, v[70:71] op_sel_hi:[1,0,1] neg_lo:[1,0,0] neg_hi:[1,0,0]
	v_pk_mul_f32 v[0:1], v[0:1], s[2:3] op_sel_hi:[1,0]
	v_pk_add_f32 v[4:5], v[4:5], v[2:3]
	v_pk_add_f32 v[2:3], v[6:7], v[0:1] op_sel:[0,1] op_sel_hi:[1,0] neg_lo:[0,1] neg_hi:[0,1]
	v_pk_add_f32 v[0:1], v[6:7], v[0:1] op_sel:[0,1] op_sel_hi:[1,0]
	v_mov_b32_e32 v6, v2
	v_mov_b32_e32 v7, v1
	;; [unrolled: 1-line block ×3, first 2 shown]
	ds_write_b64 v243, v[0:1] offset:1088
	v_pk_fma_f32 v[0:1], v[130:131], v[66:67], v[8:9] op_sel:[0,0,1] op_sel_hi:[1,1,0]
	v_pk_fma_f32 v[2:3], v[130:131], v[66:67], v[8:9] op_sel:[0,0,1] op_sel_hi:[1,1,0] neg_lo:[0,0,1] neg_hi:[0,0,1]
	ds_write2_b64 v243, v[4:5], v[6:7] offset1:68
	v_mov_b32_e32 v1, v3
	v_pk_fma_f32 v[2:3], v[78:79], v[60:61], v[10:11] op_sel:[0,0,1] op_sel_hi:[1,1,0]
	v_pk_fma_f32 v[4:5], v[78:79], v[60:61], v[10:11] op_sel:[0,0,1] op_sel_hi:[1,1,0] neg_lo:[0,0,1] neg_hi:[0,0,1]
	v_pk_mul_f32 v[14:15], v[14:15], v[100:101]
	v_mov_b32_e32 v3, v5
	v_pk_add_f32 v[4:5], v[0:1], v[2:3]
	v_pk_add_f32 v[6:7], v[0:1], v[2:3] neg_lo:[0,1] neg_hi:[0,1]
	v_pk_fma_f32 v[4:5], v[4:5], 0.5, v[56:57] op_sel_hi:[1,0,1] neg_lo:[1,0,0] neg_hi:[1,0,0]
	v_pk_mul_f32 v[6:7], v[6:7], s[2:3] op_sel_hi:[1,0]
	v_pk_add_f32 v[0:1], v[56:57], v[0:1]
	v_pk_add_f32 v[8:9], v[4:5], v[6:7] op_sel:[0,1] op_sel_hi:[1,0]
	v_pk_add_f32 v[4:5], v[4:5], v[6:7] op_sel:[0,1] op_sel_hi:[1,0] neg_lo:[0,1] neg_hi:[0,1]
	v_pk_add_f32 v[0:1], v[0:1], v[2:3]
	v_mov_b32_e32 v2, v4
	v_mov_b32_e32 v3, v9
	ds_write2_b64 v248, v[0:1], v[2:3] offset1:68
	v_pk_fma_f32 v[0:1], v[76:77], v[52:53], v[16:17] op_sel:[0,0,1] op_sel_hi:[1,1,0]
	v_pk_fma_f32 v[2:3], v[76:77], v[52:53], v[16:17] op_sel:[0,0,1] op_sel_hi:[1,1,0] neg_lo:[0,0,1] neg_hi:[0,0,1]
	v_mov_b32_e32 v9, v5
	v_mov_b32_e32 v1, v3
	v_pk_fma_f32 v[2:3], v[134:135], v[62:63], v[18:19] op_sel:[0,0,1] op_sel_hi:[1,1,0]
	v_pk_fma_f32 v[4:5], v[134:135], v[62:63], v[18:19] op_sel:[0,0,1] op_sel_hi:[1,1,0] neg_lo:[0,0,1] neg_hi:[0,0,1]
	ds_write_b64 v248, v[8:9] offset:1088
	v_mov_b32_e32 v3, v5
	v_pk_add_f32 v[4:5], v[0:1], v[2:3]
	v_pk_add_f32 v[6:7], v[0:1], v[2:3] neg_lo:[0,1] neg_hi:[0,1]
	v_pk_fma_f32 v[4:5], v[4:5], 0.5, v[58:59] op_sel_hi:[1,0,1] neg_lo:[1,0,0] neg_hi:[1,0,0]
	v_pk_mul_f32 v[6:7], v[6:7], s[2:3] op_sel_hi:[1,0]
	v_pk_add_f32 v[0:1], v[58:59], v[0:1]
	v_pk_add_f32 v[8:9], v[4:5], v[6:7] op_sel:[0,1] op_sel_hi:[1,0]
	v_pk_add_f32 v[4:5], v[4:5], v[6:7] op_sel:[0,1] op_sel_hi:[1,0] neg_lo:[0,1] neg_hi:[0,1]
	v_pk_add_f32 v[0:1], v[0:1], v[2:3]
	v_mov_b32_e32 v2, v4
	v_mov_b32_e32 v3, v9
	ds_write2_b64 v254, v[0:1], v[2:3] offset1:68
	v_pk_fma_f32 v[0:1], v[88:89], v[54:55], v[12:13] op_sel:[0,0,1] op_sel_hi:[1,1,0]
	v_pk_fma_f32 v[2:3], v[88:89], v[54:55], v[12:13] op_sel:[0,0,1] op_sel_hi:[1,1,0] neg_lo:[0,0,1] neg_hi:[0,0,1]
	v_mov_b32_e32 v9, v5
	v_mov_b32_e32 v1, v3
	v_pk_fma_f32 v[2:3], v[102:103], v[100:101], v[14:15] op_sel:[0,0,1] op_sel_hi:[1,1,0]
	v_pk_fma_f32 v[4:5], v[102:103], v[100:101], v[14:15] op_sel:[0,0,1] op_sel_hi:[1,1,0] neg_lo:[0,0,1] neg_hi:[0,0,1]
	ds_write_b64 v254, v[8:9] offset:1088
	v_mov_b32_e32 v3, v5
	v_pk_add_f32 v[4:5], v[0:1], v[2:3]
	v_pk_add_f32 v[6:7], v[0:1], v[2:3] neg_lo:[0,1] neg_hi:[0,1]
	v_pk_fma_f32 v[4:5], v[4:5], 0.5, v[48:49] op_sel_hi:[1,0,1] neg_lo:[1,0,0] neg_hi:[1,0,0]
	v_pk_mul_f32 v[6:7], v[6:7], s[2:3] op_sel_hi:[1,0]
	v_pk_add_f32 v[0:1], v[48:49], v[0:1]
	v_pk_add_f32 v[8:9], v[4:5], v[6:7] op_sel:[0,1] op_sel_hi:[1,0]
	v_pk_add_f32 v[4:5], v[4:5], v[6:7] op_sel:[0,1] op_sel_hi:[1,0] neg_lo:[0,1] neg_hi:[0,1]
	v_mov_b32_e32 v98, v44
	v_mov_b32_e32 v99, v44
	;; [unrolled: 1-line block ×21, first 2 shown]
	v_pk_add_f32 v[0:1], v[0:1], v[2:3]
	v_mov_b32_e32 v2, v4
	v_mov_b32_e32 v3, v9
	;; [unrolled: 1-line block ×3, first 2 shown]
	ds_write2_b64 v255, v[0:1], v[2:3] offset1:68
	ds_write_b64 v255, v[8:9] offset:1088
	s_and_saveexec_b64 s[10:11], s[0:1]
	s_cbranch_execz .LBB0_21
; %bb.20:
	v_pk_mul_f32 v[0:1], v[108:109], v[136:137] op_sel:[0,1]
	v_mov_b32_e32 v2, v245
	v_pk_mul_f32 v[2:3], v[110:111], v[2:3] op_sel_hi:[1,0]
	v_pk_fma_f32 v[4:5], v[108:109], v[136:137], v[0:1] op_sel:[0,0,1] op_sel_hi:[1,1,0]
	v_pk_fma_f32 v[0:1], v[108:109], v[136:137], v[0:1] op_sel:[0,0,1] op_sel_hi:[1,0,0] neg_lo:[1,0,0] neg_hi:[1,0,0]
	s_nop 0
	v_mov_b32_e32 v5, v1
	v_pk_fma_f32 v[0:1], v[110:111], v[244:245], v[2:3] op_sel:[0,0,1] op_sel_hi:[1,1,0]
	v_pk_fma_f32 v[2:3], v[110:111], v[244:245], v[2:3] op_sel:[0,0,1] op_sel_hi:[1,0,0] neg_lo:[1,0,0] neg_hi:[1,0,0]
	s_nop 0
	v_mov_b32_e32 v1, v3
	v_pk_add_f32 v[2:3], v[4:5], v[0:1]
	v_pk_add_f32 v[6:7], v[4:5], v[0:1] neg_lo:[0,1] neg_hi:[0,1]
	v_pk_fma_f32 v[2:3], -0.5, v[2:3], v[86:87] op_sel_hi:[0,1,1]
	v_pk_mul_f32 v[6:7], v[6:7], s[2:3] op_sel_hi:[1,0]
	v_pk_add_f32 v[4:5], v[86:87], v[4:5]
	v_pk_add_f32 v[8:9], v[2:3], v[6:7] op_sel:[0,1] op_sel_hi:[1,0]
	v_pk_add_f32 v[2:3], v[2:3], v[6:7] op_sel:[0,1] op_sel_hi:[1,0] neg_lo:[0,1] neg_hi:[0,1]
	v_pk_add_f32 v[0:1], v[4:5], v[0:1]
	v_mov_b32_e32 v4, v2
	v_mov_b32_e32 v5, v9
	v_add_u32_e32 v2, 0x2800, v249
	v_mov_b32_e32 v9, v3
	ds_write2_b64 v2, v[0:1], v[4:5] offset0:148 offset1:216
	ds_write_b64 v249, v[8:9] offset:12512
.LBB0_21:
	s_or_b64 exec, exec, s[10:11]
	v_add_u32_e32 v41, 0x400, v205
	s_waitcnt lgkmcnt(0)
	s_barrier
	ds_read2_b64 v[4:7], v41 offset0:76 offset1:178
	v_add_u32_e32 v58, 0x800, v205
	ds_read2_b64 v[8:11], v58 offset0:152 offset1:254
	v_add_u32_e32 v59, 0x1000, v205
	ds_read2_b64 v[12:15], v59 offset0:100 offset1:202
	s_waitcnt lgkmcnt(2)
	v_pk_mul_f32 v[44:45], v[44:45], v[4:5]
	v_add_u32_e32 v60, 0x1800, v205
	v_pk_fma_f32 v[56:57], v[98:99], v[4:5], v[44:45] op_sel:[0,0,1] op_sel_hi:[1,1,0]
	v_pk_fma_f32 v[4:5], v[98:99], v[4:5], v[44:45] op_sel:[0,0,1] op_sel_hi:[1,1,0] neg_lo:[0,0,1] neg_hi:[0,0,1]
	ds_read2_b64 v[16:19], v60 offset0:48 offset1:150
	v_mov_b32_e32 v57, v5
	s_waitcnt lgkmcnt(2)
	v_pk_mul_f32 v[4:5], v[46:47], v[8:9]
	v_add_u32_e32 v61, 0x1c00, v205
	v_pk_fma_f32 v[44:45], v[96:97], v[8:9], v[4:5] op_sel:[0,0,1] op_sel_hi:[1,1,0]
	v_pk_fma_f32 v[4:5], v[96:97], v[8:9], v[4:5] op_sel:[0,0,1] op_sel_hi:[1,1,0] neg_lo:[0,0,1] neg_hi:[0,0,1]
	ds_read2_b64 v[20:23], v61 offset0:124 offset1:226
	v_mov_b32_e32 v45, v5
	s_waitcnt lgkmcnt(2)
	v_pk_mul_f32 v[4:5], v[32:33], v[12:13] op_sel:[1,0]
	v_add_u32_e32 v62, 0x2400, v205
	v_pk_fma_f32 v[8:9], v[32:33], v[12:13], v[4:5] op_sel:[0,0,1] op_sel_hi:[1,1,0]
	v_pk_fma_f32 v[4:5], v[32:33], v[12:13], v[4:5] op_sel:[0,0,1] op_sel_hi:[0,1,0] neg_lo:[0,0,1] neg_hi:[0,0,1]
	v_mov_b32_e32 v32, v37
	v_pk_mul_f32 v[32:33], v[32:33], v[6:7] op_sel_hi:[0,1]
	v_mov_b32_e32 v9, v5
	s_waitcnt lgkmcnt(1)
	v_pk_mul_f32 v[4:5], v[34:35], v[16:17]
	v_pk_fma_f32 v[34:35], v[36:37], v[6:7], v[32:33] op_sel:[0,0,1] op_sel_hi:[1,1,0]
	v_pk_fma_f32 v[6:7], v[36:37], v[6:7], v[32:33] op_sel:[0,0,1] op_sel_hi:[0,1,0] neg_lo:[0,0,1] neg_hi:[0,0,1]
	v_mov_b32_e32 v35, v7
	v_pk_mul_f32 v[6:7], v[132:133], v[10:11]
	ds_read2_b64 v[48:51], v62 offset0:72 offset1:174
	v_pk_fma_f32 v[32:33], v[38:39], v[10:11], v[6:7] op_sel:[0,0,1] op_sel_hi:[1,1,0]
	v_pk_fma_f32 v[6:7], v[38:39], v[10:11], v[6:7] op_sel:[0,0,1] op_sel_hi:[1,1,0] neg_lo:[0,0,1] neg_hi:[0,0,1]
	v_add_u32_e32 v63, 0x2800, v205
	v_accvgpr_read_b32 v6, a48
	v_mov_b32_e32 v33, v7
	v_pk_mul_f32 v[6:7], v[6:7], v[14:15] op_sel_hi:[0,1]
	v_pk_fma_f32 v[10:11], v[40:41], v[14:15], v[6:7] op_sel:[0,0,1] op_sel_hi:[1,1,0]
	v_pk_fma_f32 v[6:7], v[40:41], v[14:15], v[6:7] op_sel:[0,0,1] op_sel_hi:[0,1,0] neg_lo:[0,0,1] neg_hi:[0,0,1]
	v_mov_b32_e32 v11, v7
	v_pk_mul_f32 v[6:7], v[80:81], v[18:19]
	ds_read2_b64 v[52:55], v63 offset0:148 offset1:250
	v_pk_fma_f32 v[14:15], v[42:43], v[18:19], v[6:7] op_sel:[0,0,1] op_sel_hi:[1,1,0]
	v_pk_fma_f32 v[6:7], v[42:43], v[18:19], v[6:7] op_sel:[0,0,1] op_sel_hi:[1,1,0] neg_lo:[0,0,1] neg_hi:[0,0,1]
	v_pk_fma_f32 v[12:13], v[94:95], v[16:17], v[4:5] op_sel:[0,0,1] op_sel_hi:[1,1,0]
	v_mov_b32_e32 v6, v29
	v_pk_fma_f32 v[4:5], v[94:95], v[16:17], v[4:5] op_sel:[0,0,1] op_sel_hi:[1,1,0] neg_lo:[0,0,1] neg_hi:[0,0,1]
	v_mov_b32_e32 v15, v7
	s_waitcnt lgkmcnt(2)
	v_pk_mul_f32 v[6:7], v[6:7], v[22:23] op_sel_hi:[0,1]
	v_mov_b32_e32 v13, v5
	v_pk_mul_f32 v[4:5], v[24:25], v[20:21]
	v_pk_fma_f32 v[18:19], v[28:29], v[22:23], v[6:7] op_sel:[0,0,1] op_sel_hi:[1,1,0]
	v_pk_fma_f32 v[6:7], v[28:29], v[22:23], v[6:7] op_sel:[0,0,1] op_sel_hi:[0,1,0] neg_lo:[0,0,1] neg_hi:[0,0,1]
	v_pk_fma_f32 v[16:17], v[92:93], v[20:21], v[4:5] op_sel:[0,0,1] op_sel_hi:[1,1,0]
	v_pk_fma_f32 v[4:5], v[92:93], v[20:21], v[4:5] op_sel:[0,0,1] op_sel_hi:[1,1,0] neg_lo:[0,0,1] neg_hi:[0,0,1]
	v_mov_b32_e32 v19, v7
	s_waitcnt lgkmcnt(1)
	v_pk_mul_f32 v[6:7], v[250:251], v[50:51]
	ds_read2_b64 v[0:3], v205 offset1:102
	v_mov_b32_e32 v17, v5
	v_pk_mul_f32 v[4:5], v[26:27], v[48:49]
	v_pk_fma_f32 v[22:23], v[30:31], v[50:51], v[6:7] op_sel:[0,0,1] op_sel_hi:[1,1,0]
	v_pk_fma_f32 v[6:7], v[30:31], v[50:51], v[6:7] op_sel:[0,0,1] op_sel_hi:[1,1,0] neg_lo:[0,0,1] neg_hi:[0,0,1]
	v_pk_fma_f32 v[20:21], v[90:91], v[48:49], v[4:5] op_sel:[0,0,1] op_sel_hi:[1,1,0]
	v_pk_fma_f32 v[4:5], v[90:91], v[48:49], v[4:5] op_sel:[0,0,1] op_sel_hi:[1,1,0] neg_lo:[0,0,1] neg_hi:[0,0,1]
	v_accvgpr_read_b32 v6, a50
	v_mov_b32_e32 v21, v5
	s_waitcnt lgkmcnt(1)
	v_pk_mul_f32 v[4:5], v[252:253], v[52:53] op_sel:[1,0]
	v_mov_b32_e32 v23, v7
	v_pk_mul_f32 v[6:7], v[6:7], v[54:55] op_sel_hi:[0,1]
	v_pk_fma_f32 v[24:25], v[252:253], v[52:53], v[4:5] op_sel:[0,0,1] op_sel_hi:[1,1,0]
	v_pk_fma_f32 v[4:5], v[252:253], v[52:53], v[4:5] op_sel:[0,0,1] op_sel_hi:[0,1,0] neg_lo:[0,0,1] neg_hi:[0,0,1]
	v_pk_fma_f32 v[28:29], v[246:247], v[54:55], v[6:7] op_sel:[0,0,1] op_sel_hi:[1,1,0]
	v_pk_fma_f32 v[6:7], v[246:247], v[54:55], v[6:7] op_sel:[0,0,1] op_sel_hi:[0,1,0] neg_lo:[0,0,1] neg_hi:[0,0,1]
	v_mov_b32_e32 v25, v5
	v_mov_b32_e32 v29, v7
	s_waitcnt lgkmcnt(0)
	v_pk_add_f32 v[4:5], v[0:1], v[12:13] neg_lo:[0,1] neg_hi:[0,1]
	v_pk_add_f32 v[12:13], v[44:45], v[20:21] neg_lo:[0,1] neg_hi:[0,1]
	;; [unrolled: 1-line block ×8, first 2 shown]
	v_pk_fma_f32 v[0:1], v[0:1], 2.0, v[4:5] op_sel_hi:[1,0,1] neg_lo:[0,0,1] neg_hi:[0,0,1]
	v_pk_fma_f32 v[20:21], v[44:45], 2.0, v[12:13] op_sel_hi:[1,0,1] neg_lo:[0,0,1] neg_hi:[0,0,1]
	;; [unrolled: 1-line block ×8, first 2 shown]
	v_pk_add_f32 v[20:21], v[0:1], v[20:21] neg_lo:[0,1] neg_hi:[0,1]
	v_pk_add_f32 v[8:9], v[26:27], v[8:9] neg_lo:[0,1] neg_hi:[0,1]
	;; [unrolled: 1-line block ×4, first 2 shown]
	v_pk_fma_f32 v[0:1], v[0:1], 2.0, v[20:21] op_sel_hi:[1,0,1] neg_lo:[0,0,1] neg_hi:[0,0,1]
	v_pk_fma_f32 v[26:27], v[26:27], 2.0, v[8:9] op_sel_hi:[1,0,1] neg_lo:[0,0,1] neg_hi:[0,0,1]
	;; [unrolled: 1-line block ×4, first 2 shown]
	v_pk_add_f32 v[32:33], v[4:5], v[12:13] op_sel:[0,1] op_sel_hi:[1,0]
	v_pk_add_f32 v[12:13], v[4:5], v[12:13] op_sel:[0,1] op_sel_hi:[1,0] neg_lo:[0,1] neg_hi:[0,1]
	v_pk_add_f32 v[26:27], v[0:1], v[26:27] neg_lo:[0,1] neg_hi:[0,1]
	v_pk_add_f32 v[30:31], v[2:3], v[30:31] neg_lo:[0,1] neg_hi:[0,1]
	v_mov_b32_e32 v33, v13
	v_pk_add_f32 v[12:13], v[16:17], v[24:25] op_sel:[0,1] op_sel_hi:[1,0]
	v_pk_add_f32 v[24:25], v[16:17], v[24:25] op_sel:[0,1] op_sel_hi:[1,0] neg_lo:[0,1] neg_hi:[0,1]
	v_pk_fma_f32 v[0:1], v[0:1], 2.0, v[26:27] op_sel_hi:[1,0,1] neg_lo:[0,0,1] neg_hi:[0,0,1]
	v_pk_fma_f32 v[2:3], v[2:3], 2.0, v[30:31] op_sel_hi:[1,0,1] neg_lo:[0,0,1] neg_hi:[0,0,1]
	v_mov_b32_e32 v13, v25
	v_pk_fma_f32 v[4:5], v[4:5], 2.0, v[32:33] op_sel_hi:[1,0,1] neg_lo:[0,0,1] neg_hi:[0,0,1]
	v_pk_fma_f32 v[16:17], v[16:17], 2.0, v[12:13] op_sel_hi:[1,0,1] neg_lo:[0,0,1] neg_hi:[0,0,1]
	s_mov_b32 s0, 0x3f3504f3
	ds_write2_b64 v205, v[0:1], v[2:3] offset1:102
	v_pk_add_f32 v[0:1], v[6:7], v[14:15] op_sel:[0,1] op_sel_hi:[1,0]
	v_pk_add_f32 v[2:3], v[6:7], v[14:15] op_sel:[0,1] op_sel_hi:[1,0] neg_lo:[0,1] neg_hi:[0,1]
	v_pk_mul_f32 v[24:25], v[16:17], s[0:1] op_sel_hi:[1,0]
	v_pk_fma_f32 v[16:17], v[16:17], s[0:1], v[4:5] op_sel_hi:[1,0,1] neg_lo:[1,0,0] neg_hi:[1,0,0]
	v_mov_b32_e32 v1, v3
	v_pk_add_f32 v[34:35], v[16:17], v[24:25] op_sel:[0,1] op_sel_hi:[1,0]
	v_pk_add_f32 v[16:17], v[16:17], v[24:25] op_sel:[0,1] op_sel_hi:[1,0] neg_lo:[0,1] neg_hi:[0,1]
	v_pk_fma_f32 v[2:3], v[6:7], 2.0, v[0:1] op_sel_hi:[1,0,1] neg_lo:[0,0,1] neg_hi:[0,0,1]
	v_pk_add_f32 v[6:7], v[18:19], v[28:29] op_sel:[0,1] op_sel_hi:[1,0]
	v_pk_add_f32 v[14:15], v[18:19], v[28:29] op_sel:[0,1] op_sel_hi:[1,0] neg_lo:[0,1] neg_hi:[0,1]
	v_mov_b32_e32 v35, v17
	v_pk_add_f32 v[16:17], v[20:21], v[8:9] op_sel:[0,1] op_sel_hi:[1,0]
	v_pk_add_f32 v[8:9], v[20:21], v[8:9] op_sel:[0,1] op_sel_hi:[1,0] neg_lo:[0,1] neg_hi:[0,1]
	v_mov_b32_e32 v7, v15
	v_mov_b32_e32 v17, v9
	v_pk_fma_f32 v[14:15], v[18:19], 2.0, v[6:7] op_sel_hi:[1,0,1] neg_lo:[0,0,1] neg_hi:[0,0,1]
	v_pk_fma_f32 v[8:9], v[20:21], 2.0, v[16:17] op_sel_hi:[1,0,1] neg_lo:[0,0,1] neg_hi:[0,0,1]
	v_pk_mul_f32 v[20:21], v[12:13], s[0:1] op_sel_hi:[1,0]
	v_pk_fma_f32 v[12:13], v[12:13], s[0:1], v[32:33] op_sel_hi:[1,0,1]
	v_pk_mul_f32 v[18:19], v[14:15], s[0:1] op_sel_hi:[1,0]
	v_pk_fma_f32 v[14:15], v[14:15], s[0:1], v[2:3] op_sel_hi:[1,0,1] neg_lo:[1,0,0] neg_hi:[1,0,0]
	v_pk_add_f32 v[24:25], v[12:13], v[20:21] op_sel:[0,1] op_sel_hi:[1,0]
	v_pk_add_f32 v[12:13], v[12:13], v[20:21] op_sel:[0,1] op_sel_hi:[1,0] neg_lo:[0,1] neg_hi:[0,1]
	v_pk_add_f32 v[20:21], v[14:15], v[18:19] op_sel:[0,1] op_sel_hi:[1,0]
	v_pk_add_f32 v[14:15], v[14:15], v[18:19] op_sel:[0,1] op_sel_hi:[1,0] neg_lo:[0,1] neg_hi:[0,1]
	v_pk_fma_f32 v[4:5], v[4:5], 2.0, v[34:35] op_sel_hi:[1,0,1] neg_lo:[0,0,1] neg_hi:[0,0,1]
	v_mov_b32_e32 v21, v15
	v_pk_fma_f32 v[2:3], v[2:3], 2.0, v[20:21] op_sel_hi:[1,0,1] neg_lo:[0,0,1] neg_hi:[0,0,1]
	ds_write2_b64 v41, v[4:5], v[2:3] offset0:76 offset1:178
	v_pk_add_f32 v[2:3], v[22:23], v[10:11] op_sel:[0,1] op_sel_hi:[1,0]
	v_pk_add_f32 v[4:5], v[22:23], v[10:11] op_sel:[0,1] op_sel_hi:[1,0] neg_lo:[0,1] neg_hi:[0,1]
	v_mov_b32_e32 v25, v13
	v_mov_b32_e32 v3, v5
	v_pk_fma_f32 v[4:5], v[22:23], 2.0, v[2:3] op_sel_hi:[1,0,1] neg_lo:[0,0,1] neg_hi:[0,0,1]
	ds_write2_b64 v58, v[8:9], v[4:5] offset0:152 offset1:254
	v_pk_mul_f32 v[4:5], v[6:7], s[0:1] op_sel_hi:[1,0]
	v_pk_fma_f32 v[6:7], v[6:7], s[0:1], v[0:1] op_sel_hi:[1,0,1]
	s_movk_i32 s3, 0x1000
	v_pk_add_f32 v[8:9], v[6:7], v[4:5] op_sel:[0,1] op_sel_hi:[1,0]
	v_pk_add_f32 v[4:5], v[6:7], v[4:5] op_sel:[0,1] op_sel_hi:[1,0] neg_lo:[0,1] neg_hi:[0,1]
	v_pk_fma_f32 v[12:13], v[32:33], 2.0, v[24:25] op_sel_hi:[1,0,1] neg_lo:[0,0,1] neg_hi:[0,0,1]
	v_mov_b32_e32 v9, v5
	v_pk_fma_f32 v[0:1], v[0:1], 2.0, v[8:9] op_sel_hi:[1,0,1] neg_lo:[0,0,1] neg_hi:[0,0,1]
	ds_write2_b64 v59, v[12:13], v[0:1] offset0:100 offset1:202
	ds_write2_b64 v60, v[26:27], v[30:31] offset0:48 offset1:150
	;; [unrolled: 1-line block ×5, first 2 shown]
	s_waitcnt lgkmcnt(0)
	s_barrier
	s_and_b64 exec, exec, vcc
	s_cbranch_execz .LBB0_23
; %bb.22:
	global_load_dwordx2 v[2:3], v82, s[8:9]
	ds_read_b64 v[6:7], v205
	v_mad_u64_u32 v[4:5], s[0:1], s6, v204, 0
	v_mov_b32_e32 v10, v5
	v_mad_u64_u32 v[10:11], s[6:7], s7, v204, v[10:11]
	v_mov_b32_e32 v0, s12
	v_mov_b32_e32 v1, s13
	;; [unrolled: 1-line block ×3, first 2 shown]
	v_mad_u64_u32 v[8:9], s[10:11], s4, v242, 0
	v_lshl_add_u64 v[0:1], v[4:5], 3, v[0:1]
	s_mov_b32 s0, 0x14141414
	v_mov_b32_e32 v12, v9
	s_mov_b32 s1, 0x3f441414
	v_mad_u64_u32 v[12:13], s[6:7], s5, v242, v[12:13]
	v_mov_b32_e32 v9, v12
	v_lshl_add_u64 v[8:9], v[8:9], 3, v[0:1]
	v_mov_b32_e32 v16, 0x300
	s_mul_i32 s2, s5, 0x300
	v_or_b32_e32 v11, 0x180, v242
	v_mov_b32_e32 v83, 0
	v_mov_b32_e32 v17, 0x600
	v_or_b32_e32 v15, 0x300, v242
	s_waitcnt vmcnt(0) lgkmcnt(0)
	v_mul_f32_e32 v4, v7, v3
	v_mul_f32_e32 v3, v6, v3
	v_fmac_f32_e32 v4, v6, v2
	v_fma_f32 v5, v2, v7, -v3
	v_cvt_f64_f32_e32 v[2:3], v4
	v_cvt_f64_f32_e32 v[4:5], v5
	v_mul_f64 v[2:3], v[2:3], s[0:1]
	v_mul_f64 v[4:5], v[4:5], s[0:1]
	v_cvt_f32_f64_e32 v2, v[2:3]
	v_cvt_f32_f64_e32 v3, v[4:5]
	global_store_dwordx2 v[8:9], v[2:3], off
	global_load_dwordx2 v[6:7], v82, s[8:9] offset:768
	ds_read2_b64 v[2:5], v82 offset0:96 offset1:192
	v_mad_u64_u32 v[8:9], s[6:7], s4, v16, v[8:9]
	v_add_u32_e32 v9, s2, v9
	s_waitcnt vmcnt(0) lgkmcnt(0)
	v_mul_f32_e32 v10, v3, v7
	v_mul_f32_e32 v7, v2, v7
	v_fmac_f32_e32 v10, v2, v6
	v_fma_f32 v6, v6, v3, -v7
	v_cvt_f64_f32_e32 v[2:3], v10
	v_cvt_f64_f32_e32 v[6:7], v6
	v_mul_f64 v[2:3], v[2:3], s[0:1]
	v_mul_f64 v[6:7], v[6:7], s[0:1]
	v_cvt_f32_f64_e32 v2, v[2:3]
	v_cvt_f32_f64_e32 v3, v[6:7]
	global_store_dwordx2 v[8:9], v[2:3], off
	global_load_dwordx2 v[2:3], v82, s[8:9] offset:1536
	v_mad_u64_u32 v[6:7], s[6:7], s4, v16, v[8:9]
	v_add_u32_e32 v7, s2, v7
	s_waitcnt vmcnt(0)
	v_mul_f32_e32 v8, v5, v3
	v_mul_f32_e32 v3, v4, v3
	v_fmac_f32_e32 v8, v4, v2
	v_fma_f32 v4, v2, v5, -v3
	v_cvt_f64_f32_e32 v[2:3], v8
	v_cvt_f64_f32_e32 v[4:5], v4
	v_mul_f64 v[2:3], v[2:3], s[0:1]
	v_mul_f64 v[4:5], v[4:5], s[0:1]
	v_cvt_f32_f64_e32 v2, v[2:3]
	v_cvt_f32_f64_e32 v3, v[4:5]
	global_store_dwordx2 v[6:7], v[2:3], off
	global_load_dwordx2 v[8:9], v82, s[8:9] offset:2304
	v_add_u32_e32 v2, 0x800, v82
	ds_read2_b64 v[2:5], v2 offset0:32 offset1:128
	v_mad_u64_u32 v[6:7], s[6:7], s4, v16, v[6:7]
	v_add_u32_e32 v7, s2, v7
	s_waitcnt vmcnt(0) lgkmcnt(0)
	v_mul_f32_e32 v10, v3, v9
	v_mul_f32_e32 v9, v2, v9
	v_fmac_f32_e32 v10, v2, v8
	v_fma_f32 v8, v8, v3, -v9
	v_cvt_f64_f32_e32 v[2:3], v10
	v_cvt_f64_f32_e32 v[8:9], v8
	v_mul_f64 v[2:3], v[2:3], s[0:1]
	v_mul_f64 v[8:9], v[8:9], s[0:1]
	v_cvt_f32_f64_e32 v2, v[2:3]
	v_cvt_f32_f64_e32 v3, v[8:9]
	global_store_dwordx2 v[6:7], v[2:3], off
	global_load_dwordx2 v[2:3], v82, s[8:9] offset:3072
	v_mad_u64_u32 v[8:9], s[6:7], s4, v11, 0
	v_mov_b32_e32 v10, v9
	v_mad_u64_u32 v[10:11], s[6:7], s5, v11, v[10:11]
	v_mov_b32_e32 v9, v10
	v_lshl_add_u64 v[8:9], v[8:9], 3, v[0:1]
	s_mul_i32 s6, s5, 0x600
	v_mad_u64_u32 v[6:7], s[10:11], s4, v17, v[6:7]
	v_add_u32_e32 v7, s6, v7
	s_waitcnt vmcnt(0)
	v_mul_f32_e32 v10, v5, v3
	v_mul_f32_e32 v3, v4, v3
	v_fmac_f32_e32 v10, v4, v2
	v_fma_f32 v4, v2, v5, -v3
	v_cvt_f64_f32_e32 v[2:3], v10
	v_cvt_f64_f32_e32 v[4:5], v4
	v_mul_f64 v[2:3], v[2:3], s[0:1]
	v_mul_f64 v[4:5], v[4:5], s[0:1]
	v_cvt_f32_f64_e32 v2, v[2:3]
	v_cvt_f32_f64_e32 v3, v[4:5]
	global_store_dwordx2 v[8:9], v[2:3], off
	global_load_dwordx2 v[8:9], v82, s[8:9] offset:3840
	v_add_u32_e32 v2, 0xc00, v82
	ds_read2_b64 v[2:5], v2 offset0:96 offset1:192
	v_lshl_add_u64 v[10:11], s[8:9], 0, v[82:83]
	v_add_co_u32_e32 v12, vcc, s3, v10
	s_movk_i32 s3, 0x2000
	s_nop 0
	v_addc_co_u32_e32 v13, vcc, 0, v11, vcc
	s_waitcnt vmcnt(0) lgkmcnt(0)
	v_mul_f32_e32 v14, v3, v9
	v_mul_f32_e32 v9, v2, v9
	v_fmac_f32_e32 v14, v2, v8
	v_fma_f32 v8, v8, v3, -v9
	v_cvt_f64_f32_e32 v[2:3], v14
	v_cvt_f64_f32_e32 v[8:9], v8
	v_mul_f64 v[2:3], v[2:3], s[0:1]
	v_mul_f64 v[8:9], v[8:9], s[0:1]
	v_cvt_f32_f64_e32 v2, v[2:3]
	v_cvt_f32_f64_e32 v3, v[8:9]
	global_store_dwordx2 v[6:7], v[2:3], off
	global_load_dwordx2 v[2:3], v[12:13], off offset:512
	v_mad_u64_u32 v[6:7], s[10:11], s4, v16, v[6:7]
	v_add_u32_e32 v7, s2, v7
	v_lshlrev_b32_e32 v14, 3, v15
	s_waitcnt vmcnt(0)
	v_mul_f32_e32 v8, v5, v3
	v_mul_f32_e32 v3, v4, v3
	v_fmac_f32_e32 v8, v4, v2
	v_fma_f32 v4, v2, v5, -v3
	v_cvt_f64_f32_e32 v[2:3], v8
	v_cvt_f64_f32_e32 v[4:5], v4
	v_mul_f64 v[2:3], v[2:3], s[0:1]
	v_mul_f64 v[4:5], v[4:5], s[0:1]
	v_cvt_f32_f64_e32 v2, v[2:3]
	v_cvt_f32_f64_e32 v3, v[4:5]
	global_store_dwordx2 v[6:7], v[2:3], off
	global_load_dwordx2 v[8:9], v[12:13], off offset:1280
	v_add_u32_e32 v2, 0x1400, v82
	ds_read2_b64 v[2:5], v2 offset0:32 offset1:128
	v_mad_u64_u32 v[6:7], s[10:11], s4, v16, v[6:7]
	v_add_u32_e32 v7, s2, v7
	s_waitcnt vmcnt(0) lgkmcnt(0)
	v_mul_f32_e32 v18, v3, v9
	v_mul_f32_e32 v9, v2, v9
	v_fmac_f32_e32 v18, v2, v8
	v_fma_f32 v8, v8, v3, -v9
	v_cvt_f64_f32_e32 v[2:3], v18
	v_cvt_f64_f32_e32 v[8:9], v8
	v_mul_f64 v[2:3], v[2:3], s[0:1]
	v_mul_f64 v[8:9], v[8:9], s[0:1]
	v_cvt_f32_f64_e32 v2, v[2:3]
	v_cvt_f32_f64_e32 v3, v[8:9]
	global_store_dwordx2 v[6:7], v[2:3], off
	global_load_dwordx2 v[2:3], v14, s[8:9]
	v_mad_u64_u32 v[8:9], s[10:11], s4, v15, 0
	v_mov_b32_e32 v14, v9
	v_mad_u64_u32 v[14:15], s[10:11], s5, v15, v[14:15]
	v_mov_b32_e32 v9, v14
	v_lshl_add_u64 v[8:9], v[8:9], 3, v[0:1]
	v_mad_u64_u32 v[6:7], s[10:11], s4, v17, v[6:7]
	v_add_u32_e32 v7, s6, v7
	s_waitcnt vmcnt(0)
	v_mul_f32_e32 v14, v5, v3
	v_mul_f32_e32 v3, v4, v3
	v_fmac_f32_e32 v14, v4, v2
	v_fma_f32 v4, v2, v5, -v3
	v_cvt_f64_f32_e32 v[2:3], v14
	v_cvt_f64_f32_e32 v[4:5], v4
	v_mul_f64 v[2:3], v[2:3], s[0:1]
	v_mul_f64 v[4:5], v[4:5], s[0:1]
	v_cvt_f32_f64_e32 v2, v[2:3]
	v_cvt_f32_f64_e32 v3, v[4:5]
	global_store_dwordx2 v[8:9], v[2:3], off
	global_load_dwordx2 v[8:9], v[12:13], off offset:2816
	v_add_u32_e32 v2, 0x1800, v82
	ds_read2_b64 v[2:5], v2 offset0:96 offset1:192
	s_waitcnt vmcnt(0) lgkmcnt(0)
	v_mul_f32_e32 v14, v3, v9
	v_mul_f32_e32 v9, v2, v9
	v_fmac_f32_e32 v14, v2, v8
	v_fma_f32 v8, v8, v3, -v9
	v_cvt_f64_f32_e32 v[2:3], v14
	v_cvt_f64_f32_e32 v[8:9], v8
	v_mul_f64 v[2:3], v[2:3], s[0:1]
	v_mul_f64 v[8:9], v[8:9], s[0:1]
	v_cvt_f32_f64_e32 v2, v[2:3]
	v_cvt_f32_f64_e32 v3, v[8:9]
	global_store_dwordx2 v[6:7], v[2:3], off
	global_load_dwordx2 v[2:3], v[12:13], off offset:3584
	v_add_co_u32_e32 v8, vcc, s3, v10
	v_mad_u64_u32 v[6:7], s[10:11], s4, v16, v[6:7]
	v_add_u32_e32 v7, s2, v7
	v_addc_co_u32_e32 v9, vcc, 0, v11, vcc
	v_or_b32_e32 v13, 0x480, v242
	v_lshlrev_b32_e32 v12, 3, v13
	s_waitcnt vmcnt(0)
	v_mul_f32_e32 v10, v5, v3
	v_mul_f32_e32 v3, v4, v3
	v_fmac_f32_e32 v10, v4, v2
	v_fma_f32 v4, v2, v5, -v3
	v_cvt_f64_f32_e32 v[2:3], v10
	v_cvt_f64_f32_e32 v[4:5], v4
	v_mul_f64 v[2:3], v[2:3], s[0:1]
	v_mul_f64 v[4:5], v[4:5], s[0:1]
	v_cvt_f32_f64_e32 v2, v[2:3]
	v_cvt_f32_f64_e32 v3, v[4:5]
	global_store_dwordx2 v[6:7], v[2:3], off
	global_load_dwordx2 v[10:11], v[8:9], off offset:256
	v_add_u32_e32 v2, 0x2000, v82
	ds_read2_b64 v[2:5], v2 offset0:32 offset1:128
	v_mad_u64_u32 v[6:7], s[10:11], s4, v16, v[6:7]
	v_add_u32_e32 v7, s2, v7
	s_waitcnt vmcnt(0) lgkmcnt(0)
	v_mul_f32_e32 v14, v3, v11
	v_mul_f32_e32 v11, v2, v11
	v_fmac_f32_e32 v14, v2, v10
	v_fma_f32 v10, v10, v3, -v11
	v_cvt_f64_f32_e32 v[2:3], v14
	v_cvt_f64_f32_e32 v[10:11], v10
	v_mul_f64 v[2:3], v[2:3], s[0:1]
	v_mul_f64 v[10:11], v[10:11], s[0:1]
	v_cvt_f32_f64_e32 v2, v[2:3]
	v_cvt_f32_f64_e32 v3, v[10:11]
	global_store_dwordx2 v[6:7], v[2:3], off
	global_load_dwordx2 v[2:3], v12, s[8:9]
	v_mad_u64_u32 v[10:11], s[10:11], s4, v13, 0
	v_mov_b32_e32 v12, v11
	v_mad_u64_u32 v[12:13], s[10:11], s5, v13, v[12:13]
	v_mov_b32_e32 v11, v12
	v_lshl_add_u64 v[10:11], v[10:11], 3, v[0:1]
	v_mad_u64_u32 v[6:7], s[10:11], s4, v17, v[6:7]
	v_add_u32_e32 v7, s6, v7
	s_waitcnt vmcnt(0)
	v_mul_f32_e32 v12, v5, v3
	v_mul_f32_e32 v3, v4, v3
	v_fmac_f32_e32 v12, v4, v2
	v_fma_f32 v4, v2, v5, -v3
	v_cvt_f64_f32_e32 v[2:3], v12
	v_cvt_f64_f32_e32 v[4:5], v4
	v_mul_f64 v[2:3], v[2:3], s[0:1]
	v_mul_f64 v[4:5], v[4:5], s[0:1]
	v_cvt_f32_f64_e32 v2, v[2:3]
	v_cvt_f32_f64_e32 v3, v[4:5]
	global_store_dwordx2 v[10:11], v[2:3], off
	global_load_dwordx2 v[10:11], v[8:9], off offset:1792
	v_add_u32_e32 v2, 0x2400, v82
	ds_read2_b64 v[2:5], v2 offset0:96 offset1:192
	s_waitcnt vmcnt(0) lgkmcnt(0)
	v_mul_f32_e32 v12, v3, v11
	v_mul_f32_e32 v11, v2, v11
	v_fmac_f32_e32 v12, v2, v10
	v_fma_f32 v10, v10, v3, -v11
	v_cvt_f64_f32_e32 v[2:3], v12
	v_cvt_f64_f32_e32 v[10:11], v10
	v_mul_f64 v[2:3], v[2:3], s[0:1]
	v_mul_f64 v[10:11], v[10:11], s[0:1]
	v_cvt_f32_f64_e32 v2, v[2:3]
	v_cvt_f32_f64_e32 v3, v[10:11]
	global_store_dwordx2 v[6:7], v[2:3], off
	global_load_dwordx2 v[2:3], v[8:9], off offset:2560
	v_mad_u64_u32 v[6:7], s[6:7], s4, v16, v[6:7]
	v_add_u32_e32 v7, s2, v7
	s_waitcnt vmcnt(0)
	v_mul_f32_e32 v10, v5, v3
	v_mul_f32_e32 v3, v4, v3
	v_fmac_f32_e32 v10, v4, v2
	v_fma_f32 v4, v2, v5, -v3
	v_cvt_f64_f32_e32 v[2:3], v10
	v_cvt_f64_f32_e32 v[4:5], v4
	v_mul_f64 v[2:3], v[2:3], s[0:1]
	v_mul_f64 v[4:5], v[4:5], s[0:1]
	v_cvt_f32_f64_e32 v2, v[2:3]
	v_cvt_f32_f64_e32 v3, v[4:5]
	global_store_dwordx2 v[6:7], v[2:3], off
	global_load_dwordx2 v[8:9], v[8:9], off offset:3328
	v_add_u32_e32 v2, 0x2c00, v82
	ds_read2_b64 v[2:5], v2 offset0:32 offset1:128
	v_mad_u64_u32 v[6:7], s[6:7], s4, v16, v[6:7]
	v_or_b32_e32 v10, 0x600, v242
	v_add_u32_e32 v7, s2, v7
	v_lshlrev_b32_e32 v11, 3, v10
	s_waitcnt vmcnt(0) lgkmcnt(0)
	v_mul_f32_e32 v12, v3, v9
	v_mul_f32_e32 v9, v2, v9
	v_fmac_f32_e32 v12, v2, v8
	v_fma_f32 v8, v8, v3, -v9
	v_cvt_f64_f32_e32 v[2:3], v12
	v_cvt_f64_f32_e32 v[8:9], v8
	v_mul_f64 v[2:3], v[2:3], s[0:1]
	v_mul_f64 v[8:9], v[8:9], s[0:1]
	v_cvt_f32_f64_e32 v2, v[2:3]
	v_cvt_f32_f64_e32 v3, v[8:9]
	global_store_dwordx2 v[6:7], v[2:3], off
	global_load_dwordx2 v[2:3], v11, s[8:9]
	v_mad_u64_u32 v[6:7], s[2:3], s4, v10, 0
	v_mov_b32_e32 v8, v7
	v_mad_u64_u32 v[8:9], s[2:3], s5, v10, v[8:9]
	v_mov_b32_e32 v7, v8
	v_lshl_add_u64 v[0:1], v[6:7], 3, v[0:1]
	s_waitcnt vmcnt(0)
	v_mul_f32_e32 v8, v5, v3
	v_mul_f32_e32 v3, v4, v3
	v_fmac_f32_e32 v8, v4, v2
	v_fma_f32 v4, v2, v5, -v3
	v_cvt_f64_f32_e32 v[2:3], v8
	v_cvt_f64_f32_e32 v[4:5], v4
	v_mul_f64 v[2:3], v[2:3], s[0:1]
	v_mul_f64 v[4:5], v[4:5], s[0:1]
	v_cvt_f32_f64_e32 v2, v[2:3]
	v_cvt_f32_f64_e32 v3, v[4:5]
	global_store_dwordx2 v[0:1], v[2:3], off
.LBB0_23:
	s_endpgm
	.section	.rodata,"a",@progbits
	.p2align	6, 0x0
	.amdhsa_kernel bluestein_single_fwd_len1632_dim1_sp_op_CI_CI
		.amdhsa_group_segment_fixed_size 13056
		.amdhsa_private_segment_fixed_size 0
		.amdhsa_kernarg_size 104
		.amdhsa_user_sgpr_count 2
		.amdhsa_user_sgpr_dispatch_ptr 0
		.amdhsa_user_sgpr_queue_ptr 0
		.amdhsa_user_sgpr_kernarg_segment_ptr 1
		.amdhsa_user_sgpr_dispatch_id 0
		.amdhsa_user_sgpr_kernarg_preload_length 0
		.amdhsa_user_sgpr_kernarg_preload_offset 0
		.amdhsa_user_sgpr_private_segment_size 0
		.amdhsa_uses_dynamic_stack 0
		.amdhsa_enable_private_segment 0
		.amdhsa_system_sgpr_workgroup_id_x 1
		.amdhsa_system_sgpr_workgroup_id_y 0
		.amdhsa_system_sgpr_workgroup_id_z 0
		.amdhsa_system_sgpr_workgroup_info 0
		.amdhsa_system_vgpr_workitem_id 0
		.amdhsa_next_free_vgpr 370
		.amdhsa_next_free_sgpr 74
		.amdhsa_accum_offset 256
		.amdhsa_reserve_vcc 1
		.amdhsa_float_round_mode_32 0
		.amdhsa_float_round_mode_16_64 0
		.amdhsa_float_denorm_mode_32 3
		.amdhsa_float_denorm_mode_16_64 3
		.amdhsa_dx10_clamp 1
		.amdhsa_ieee_mode 1
		.amdhsa_fp16_overflow 0
		.amdhsa_tg_split 0
		.amdhsa_exception_fp_ieee_invalid_op 0
		.amdhsa_exception_fp_denorm_src 0
		.amdhsa_exception_fp_ieee_div_zero 0
		.amdhsa_exception_fp_ieee_overflow 0
		.amdhsa_exception_fp_ieee_underflow 0
		.amdhsa_exception_fp_ieee_inexact 0
		.amdhsa_exception_int_div_zero 0
	.end_amdhsa_kernel
	.text
.Lfunc_end0:
	.size	bluestein_single_fwd_len1632_dim1_sp_op_CI_CI, .Lfunc_end0-bluestein_single_fwd_len1632_dim1_sp_op_CI_CI
                                        ; -- End function
	.section	.AMDGPU.csdata,"",@progbits
; Kernel info:
; codeLenInByte = 23112
; NumSgprs: 80
; NumVgprs: 256
; NumAgprs: 114
; TotalNumVgprs: 370
; ScratchSize: 0
; MemoryBound: 0
; FloatMode: 240
; IeeeMode: 1
; LDSByteSize: 13056 bytes/workgroup (compile time only)
; SGPRBlocks: 9
; VGPRBlocks: 46
; NumSGPRsForWavesPerEU: 80
; NumVGPRsForWavesPerEU: 370
; AccumOffset: 256
; Occupancy: 1
; WaveLimiterHint : 1
; COMPUTE_PGM_RSRC2:SCRATCH_EN: 0
; COMPUTE_PGM_RSRC2:USER_SGPR: 2
; COMPUTE_PGM_RSRC2:TRAP_HANDLER: 0
; COMPUTE_PGM_RSRC2:TGID_X_EN: 1
; COMPUTE_PGM_RSRC2:TGID_Y_EN: 0
; COMPUTE_PGM_RSRC2:TGID_Z_EN: 0
; COMPUTE_PGM_RSRC2:TIDIG_COMP_CNT: 0
; COMPUTE_PGM_RSRC3_GFX90A:ACCUM_OFFSET: 63
; COMPUTE_PGM_RSRC3_GFX90A:TG_SPLIT: 0
	.text
	.p2alignl 6, 3212836864
	.fill 256, 4, 3212836864
	.type	__hip_cuid_5074453c82d6d777,@object ; @__hip_cuid_5074453c82d6d777
	.section	.bss,"aw",@nobits
	.globl	__hip_cuid_5074453c82d6d777
__hip_cuid_5074453c82d6d777:
	.byte	0                               ; 0x0
	.size	__hip_cuid_5074453c82d6d777, 1

	.ident	"AMD clang version 19.0.0git (https://github.com/RadeonOpenCompute/llvm-project roc-6.4.0 25133 c7fe45cf4b819c5991fe208aaa96edf142730f1d)"
	.section	".note.GNU-stack","",@progbits
	.addrsig
	.addrsig_sym __hip_cuid_5074453c82d6d777
	.amdgpu_metadata
---
amdhsa.kernels:
  - .agpr_count:     114
    .args:
      - .actual_access:  read_only
        .address_space:  global
        .offset:         0
        .size:           8
        .value_kind:     global_buffer
      - .actual_access:  read_only
        .address_space:  global
        .offset:         8
        .size:           8
        .value_kind:     global_buffer
      - .actual_access:  read_only
        .address_space:  global
        .offset:         16
        .size:           8
        .value_kind:     global_buffer
      - .actual_access:  read_only
        .address_space:  global
        .offset:         24
        .size:           8
        .value_kind:     global_buffer
      - .actual_access:  read_only
        .address_space:  global
        .offset:         32
        .size:           8
        .value_kind:     global_buffer
      - .offset:         40
        .size:           8
        .value_kind:     by_value
      - .address_space:  global
        .offset:         48
        .size:           8
        .value_kind:     global_buffer
      - .address_space:  global
        .offset:         56
        .size:           8
        .value_kind:     global_buffer
      - .address_space:  global
        .offset:         64
        .size:           8
        .value_kind:     global_buffer
      - .address_space:  global
        .offset:         72
        .size:           8
        .value_kind:     global_buffer
      - .offset:         80
        .size:           4
        .value_kind:     by_value
      - .address_space:  global
        .offset:         88
        .size:           8
        .value_kind:     global_buffer
      - .address_space:  global
        .offset:         96
        .size:           8
        .value_kind:     global_buffer
    .group_segment_fixed_size: 13056
    .kernarg_segment_align: 8
    .kernarg_segment_size: 104
    .language:       OpenCL C
    .language_version:
      - 2
      - 0
    .max_flat_workgroup_size: 102
    .name:           bluestein_single_fwd_len1632_dim1_sp_op_CI_CI
    .private_segment_fixed_size: 0
    .sgpr_count:     80
    .sgpr_spill_count: 0
    .symbol:         bluestein_single_fwd_len1632_dim1_sp_op_CI_CI.kd
    .uniform_work_group_size: 1
    .uses_dynamic_stack: false
    .vgpr_count:     370
    .vgpr_spill_count: 0
    .wavefront_size: 64
amdhsa.target:   amdgcn-amd-amdhsa--gfx950
amdhsa.version:
  - 1
  - 2
...

	.end_amdgpu_metadata
